;; amdgpu-corpus repo=ROCm/rocFFT kind=compiled arch=gfx1201 opt=O3
	.text
	.amdgcn_target "amdgcn-amd-amdhsa--gfx1201"
	.amdhsa_code_object_version 6
	.protected	bluestein_single_back_len2000_dim1_half_op_CI_CI ; -- Begin function bluestein_single_back_len2000_dim1_half_op_CI_CI
	.globl	bluestein_single_back_len2000_dim1_half_op_CI_CI
	.p2align	8
	.type	bluestein_single_back_len2000_dim1_half_op_CI_CI,@function
bluestein_single_back_len2000_dim1_half_op_CI_CI: ; @bluestein_single_back_len2000_dim1_half_op_CI_CI
; %bb.0:
	s_load_b128 s[8:11], s[0:1], 0x28
	v_mul_u32_u24_e32 v1, 0x20d, v0
	s_mov_b32 s2, exec_lo
	v_mov_b32_e32 v50, 0
	s_delay_alu instid0(VALU_DEP_2) | instskip(NEXT) | instid1(VALU_DEP_1)
	v_lshrrev_b32_e32 v1, 16, v1
	v_add_nc_u32_e32 v49, ttmp9, v1
	s_wait_kmcnt 0x0
	s_delay_alu instid0(VALU_DEP_1)
	v_cmpx_gt_u64_e64 s[8:9], v[49:50]
	s_cbranch_execz .LBB0_31
; %bb.1:
	s_clause 0x1
	s_load_b128 s[4:7], s[0:1], 0x18
	s_load_b64 s[16:17], s[0:1], 0x0
	v_mul_lo_u16 v1, 0x7d, v1
	s_delay_alu instid0(VALU_DEP_1) | instskip(NEXT) | instid1(VALU_DEP_1)
	v_sub_nc_u16 v7, v0, v1
	v_and_b32_e32 v87, 0xffff, v7
	s_wait_kmcnt 0x0
	s_load_b128 s[12:15], s[4:5], 0x0
	s_wait_kmcnt 0x0
	v_mad_co_u64_u32 v[0:1], null, s14, v49, 0
	v_mad_co_u64_u32 v[2:3], null, s12, v87, 0
	s_mul_u64 s[2:3], s[12:13], 0x190
	s_delay_alu instid0(VALU_DEP_1) | instskip(NEXT) | instid1(VALU_DEP_1)
	v_mad_co_u64_u32 v[4:5], null, s15, v49, v[1:2]
	v_dual_mov_b32 v1, v4 :: v_dual_lshlrev_b32 v64, 2, v87
	s_delay_alu instid0(VALU_DEP_3)
	v_mad_co_u64_u32 v[5:6], null, s13, v87, v[3:4]
	s_clause 0x4
	global_load_b32 v91, v64, s[16:17]
	global_load_b32 v82, v64, s[16:17] offset:500
	global_load_b32 v80, v64, s[16:17] offset:2100
	;; [unrolled: 1-line block ×4, first 2 shown]
	v_lshlrev_b64_e32 v[0:1], 2, v[0:1]
	v_add_nc_u32_e32 v4, 0x800, v64
	s_clause 0x5
	global_load_b32 v89, v64, s[16:17] offset:3200
	global_load_b32 v71, v64, s[16:17] offset:2600
	;; [unrolled: 1-line block ×6, first 2 shown]
	v_mov_b32_e32 v3, v5
	s_clause 0x3
	global_load_b32 v85, v64, s[16:17] offset:6400
	global_load_b32 v66, v64, s[16:17] offset:5800
	;; [unrolled: 1-line block ×4, first 2 shown]
	v_add_co_u32 v0, vcc_lo, s10, v0
	v_add_co_ci_u32_e32 v1, vcc_lo, s11, v1, vcc_lo
	v_lshlrev_b64_e32 v[2:3], 2, v[2:3]
	s_lshl_b64 s[10:11], s[2:3], 2
	s_movk_i32 s2, 0xfa3d
	s_mov_b32 s3, -1
	v_add_nc_u32_e32 v14, 0x1400, v64
	s_mul_u64 s[2:3], s[12:13], s[2:3]
	v_add_co_u32 v0, vcc_lo, v0, v2
	s_wait_alu 0xfffd
	v_add_co_ci_u32_e32 v1, vcc_lo, v1, v3, vcc_lo
	s_lshl_b64 s[2:3], s[2:3], 2
	s_wait_alu 0xfffe
	v_add_co_u32 v2, vcc_lo, v0, s10
	s_wait_alu 0xfffd
	v_add_co_ci_u32_e32 v3, vcc_lo, s11, v1, vcc_lo
	global_load_b32 v5, v[0:1], off
	v_add_co_u32 v47, s12, s16, v64
	global_load_b32 v6, v[2:3], off
	v_add_co_u32 v0, vcc_lo, v2, s10
	s_wait_alu 0xfffd
	v_add_co_ci_u32_e32 v1, vcc_lo, s11, v3, vcc_lo
	s_wait_alu 0xf1ff
	v_add_co_ci_u32_e64 v48, null, s17, 0, s12
	v_add_nc_u32_e32 v20, 0xe00, v64
	global_load_b32 v8, v[0:1], off
	v_add_co_u32 v0, vcc_lo, v0, s10
	s_wait_alu 0xfffd
	v_add_co_ci_u32_e32 v1, vcc_lo, s11, v1, vcc_lo
	s_delay_alu instid0(VALU_DEP_2) | instskip(SKIP_1) | instid1(VALU_DEP_2)
	v_add_co_u32 v2, vcc_lo, v0, s10
	s_wait_alu 0xfffd
	v_add_co_ci_u32_e32 v3, vcc_lo, s11, v1, vcc_lo
	s_clause 0x1
	global_load_b32 v9, v[0:1], off
	global_load_b32 v10, v[2:3], off
	v_add_co_u32 v0, vcc_lo, v2, s2
	s_wait_alu 0xfffd
	v_add_co_ci_u32_e32 v1, vcc_lo, s3, v3, vcc_lo
	s_delay_alu instid0(VALU_DEP_2) | instskip(SKIP_1) | instid1(VALU_DEP_2)
	v_add_co_u32 v2, vcc_lo, v0, s10
	s_wait_alu 0xfffd
	v_add_co_ci_u32_e32 v3, vcc_lo, s11, v1, vcc_lo
	global_load_b32 v11, v[0:1], off
	global_load_b32 v12, v[2:3], off
	v_add_co_u32 v0, vcc_lo, v2, s10
	s_wait_alu 0xfffd
	v_add_co_ci_u32_e32 v1, vcc_lo, s11, v3, vcc_lo
	global_load_b32 v13, v[0:1], off
	v_add_co_u32 v0, vcc_lo, v0, s10
	s_wait_alu 0xfffd
	v_add_co_ci_u32_e32 v1, vcc_lo, s11, v1, vcc_lo
	s_delay_alu instid0(VALU_DEP_2) | instskip(SKIP_1) | instid1(VALU_DEP_2)
	v_add_co_u32 v2, vcc_lo, v0, s10
	s_wait_alu 0xfffd
	v_add_co_ci_u32_e32 v3, vcc_lo, s11, v1, vcc_lo
	global_load_b32 v15, v[0:1], off
	global_load_b32 v16, v[2:3], off
	v_add_co_u32 v0, vcc_lo, v2, s2
	s_wait_alu 0xfffd
	v_add_co_ci_u32_e32 v1, vcc_lo, s3, v3, vcc_lo
	s_delay_alu instid0(VALU_DEP_2) | instskip(SKIP_1) | instid1(VALU_DEP_2)
	v_add_co_u32 v2, vcc_lo, v0, s10
	s_wait_alu 0xfffd
	v_add_co_ci_u32_e32 v3, vcc_lo, s11, v1, vcc_lo
	global_load_b32 v17, v[0:1], off
	v_add_co_u32 v0, vcc_lo, v2, s10
	s_wait_alu 0xfffd
	v_add_co_ci_u32_e32 v1, vcc_lo, s11, v3, vcc_lo
	global_load_b32 v18, v[2:3], off
	;; [unrolled: 4-line block ×4, first 2 shown]
	global_load_b32 v3, v[0:1], off
	s_load_b64 s[8:9], s[0:1], 0x38
	s_load_b128 s[4:7], s[6:7], 0x0
	v_cmp_gt_u16_e32 vcc_lo, 25, v7
	s_wait_loadcnt 0x1b
	v_lshrrev_b32_e32 v83, 16, v80
	v_lshrrev_b32_e32 v95, 16, v91
	;; [unrolled: 1-line block ×3, first 2 shown]
	s_wait_loadcnt 0x16
	v_lshrrev_b32_e32 v94, 16, v93
	v_lshrrev_b32_e32 v92, 16, v89
	s_wait_loadcnt 0x12
	v_lshrrev_b32_e32 v86, 16, v85
	v_lshrrev_b32_e32 v81, 16, v78
	;; [unrolled: 3-line block ×3, first 2 shown]
	v_lshrrev_b32_e32 v77, 16, v75
	v_lshrrev_b32_e32 v74, 16, v73
	;; [unrolled: 1-line block ×3, first 2 shown]
	s_wait_loadcnt 0xf
	v_lshrrev_b32_e32 v70, 16, v69
	v_lshrrev_b32_e32 v68, 16, v66
	;; [unrolled: 1-line block ×3, first 2 shown]
	s_wait_loadcnt 0xe
	v_lshrrev_b32_e32 v21, 16, v5
	v_mul_f16_e32 v22, v95, v5
	s_wait_loadcnt 0xd
	v_lshrrev_b32_e32 v24, 16, v6
	v_mul_f16_e32 v25, v94, v6
	v_mul_f16_e32 v23, v95, v21
	v_fma_f16 v21, v91, v21, -v22
	s_delay_alu instid0(VALU_DEP_2)
	v_fmac_f16_e32 v23, v91, v5
	v_mul_f16_e32 v5, v94, v24
	s_wait_loadcnt 0xc
	v_lshrrev_b32_e32 v22, 16, v8
	v_fma_f16 v24, v93, v24, -v25
	v_mul_f16_e32 v25, v92, v8
	v_pack_b32_f16 v21, v23, v21
	v_fmac_f16_e32 v5, v93, v6
	v_mul_f16_e32 v6, v92, v22
	s_delay_alu instid0(VALU_DEP_4)
	v_fma_f16 v22, v89, v22, -v25
	s_wait_loadcnt 0xb
	v_lshrrev_b32_e32 v23, 16, v9
	v_mul_f16_e32 v25, v90, v9
	v_pack_b32_f16 v5, v5, v24
	v_fmac_f16_e32 v6, v89, v8
	s_wait_loadcnt 0xa
	v_lshrrev_b32_e32 v24, 16, v10
	v_mul_f16_e32 v8, v90, v23
	v_fma_f16 v23, v88, v23, -v25
	v_mul_f16_e32 v25, v86, v10
	v_pack_b32_f16 v6, v6, v22
	s_delay_alu instid0(VALU_DEP_4) | instskip(SKIP_1) | instid1(VALU_DEP_4)
	v_fmac_f16_e32 v8, v88, v9
	v_mul_f16_e32 v9, v86, v24
	v_fma_f16 v24, v85, v24, -v25
	s_wait_loadcnt 0x9
	v_lshrrev_b32_e32 v22, 16, v11
	v_mul_f16_e32 v25, v84, v11
	v_pack_b32_f16 v8, v8, v23
	v_fmac_f16_e32 v9, v85, v10
	s_wait_loadcnt 0x8
	v_lshrrev_b32_e32 v23, 16, v12
	v_mul_f16_e32 v10, v84, v22
	v_mul_f16_e32 v26, v83, v12
	v_fma_f16 v22, v82, v22, -v25
	v_pack_b32_f16 v9, v9, v24
	s_wait_loadcnt 0x7
	v_lshrrev_b32_e32 v24, 16, v13
	v_fmac_f16_e32 v10, v82, v11
	v_mul_f16_e32 v11, v83, v23
	v_fma_f16 v23, v80, v23, -v26
	ds_store_b32 v64, v5 offset:1600
	ds_store_b32 v64, v6 offset:3200
	;; [unrolled: 1-line block ×4, first 2 shown]
	v_mul_f16_e32 v25, v81, v13
	v_pack_b32_f16 v5, v10, v22
	v_fmac_f16_e32 v11, v80, v12
	v_mul_f16_e32 v6, v81, v24
	s_delay_alu instid0(VALU_DEP_4)
	v_fma_f16 v8, v78, v24, -v25
	s_wait_loadcnt 0x6
	v_lshrrev_b32_e32 v9, 16, v15
	v_mul_f16_e32 v10, v79, v15
	ds_store_2addr_b32 v64, v21, v5 offset1:125
	v_pack_b32_f16 v5, v11, v23
	v_fmac_f16_e32 v6, v78, v13
	v_mul_f16_e32 v11, v79, v9
	s_wait_loadcnt 0x5
	v_lshrrev_b32_e32 v12, 16, v16
	v_fma_f16 v9, v76, v9, -v10
	v_mul_f16_e32 v10, v77, v16
	v_pack_b32_f16 v6, v6, v8
	v_fmac_f16_e32 v11, v76, v15
	s_wait_loadcnt 0x4
	v_lshrrev_b32_e32 v13, 16, v17
	v_mul_f16_e32 v8, v77, v12
	v_fma_f16 v10, v75, v12, -v10
	v_mul_f16_e32 v12, v74, v17
	v_pack_b32_f16 v9, v11, v9
	v_mul_f16_e32 v11, v74, v13
	v_fmac_f16_e32 v8, v75, v16
	s_wait_loadcnt 0x3
	v_lshrrev_b32_e32 v15, 16, v18
	v_mul_f16_e32 v16, v72, v18
	v_fma_f16 v12, v73, v13, -v12
	v_fmac_f16_e32 v11, v73, v17
	v_pack_b32_f16 v8, v8, v10
	v_mul_f16_e32 v10, v72, v15
	v_fma_f16 v13, v71, v15, -v16
	s_wait_loadcnt 0x2
	v_lshrrev_b32_e32 v15, 16, v19
	v_mul_f16_e32 v16, v70, v19
	v_pack_b32_f16 v11, v11, v12
	s_wait_loadcnt 0x1
	v_lshrrev_b32_e32 v12, 16, v2
	v_fmac_f16_e32 v10, v71, v18
	s_wait_loadcnt 0x0
	v_lshrrev_b32_e32 v18, 16, v3
	v_mul_f16_e32 v17, v70, v15
	v_fma_f16 v15, v69, v15, -v16
	v_mul_f16_e32 v16, v68, v2
	v_mul_f16_e32 v21, v68, v12
	;; [unrolled: 1-line block ×4, first 2 shown]
	v_fmac_f16_e32 v17, v69, v19
	v_fma_f16 v12, v66, v12, -v16
	v_fmac_f16_e32 v21, v66, v2
	v_fma_f16 v2, v65, v18, -v22
	v_fmac_f16_e32 v23, v65, v3
	v_pack_b32_f16 v3, v10, v13
	v_pack_b32_f16 v10, v17, v15
	ds_store_b32 v64, v11 offset:1000
	v_pack_b32_f16 v11, v21, v12
	v_pack_b32_f16 v2, v23, v2
	v_add_nc_u32_e32 v12, 0x1a00, v64
	ds_store_2addr_b32 v4, v5, v3 offset0:13 offset1:138
	ds_store_2addr_b32 v20, v6, v10 offset0:29 offset1:154
	;; [unrolled: 1-line block ×4, first 2 shown]
	s_and_saveexec_b32 s12, vcc_lo
	s_cbranch_execz .LBB0_3
; %bb.2:
	v_add_co_u32 v0, s2, v0, s2
	s_wait_alu 0xf1ff
	v_add_co_ci_u32_e64 v1, s2, s3, v1, s2
	s_delay_alu instid0(VALU_DEP_2) | instskip(SKIP_1) | instid1(VALU_DEP_2)
	v_add_co_u32 v2, s2, v0, s10
	s_wait_alu 0xf1ff
	v_add_co_ci_u32_e64 v3, s2, s11, v1, s2
	global_load_b32 v7, v[0:1], off
	global_load_b32 v8, v[2:3], off
	s_clause 0x1
	global_load_b32 v9, v[47:48], off offset:1500
	global_load_b32 v10, v[47:48], off offset:3100
	v_add_co_u32 v0, s2, v2, s10
	s_wait_alu 0xf1ff
	v_add_co_ci_u32_e64 v1, s2, s11, v3, s2
	s_clause 0x1
	global_load_b32 v11, v[47:48], off offset:4700
	global_load_b32 v12, v[47:48], off offset:6300
	v_add_co_u32 v2, s2, v0, s10
	s_wait_alu 0xf1ff
	v_add_co_ci_u32_e64 v3, s2, s11, v1, s2
	global_load_b32 v13, v[47:48], off offset:7900
	v_add_co_u32 v5, s2, v2, s10
	s_wait_alu 0xf1ff
	v_add_co_ci_u32_e64 v6, s2, s11, v3, s2
	global_load_b32 v0, v[0:1], off
	global_load_b32 v1, v[2:3], off
	;; [unrolled: 1-line block ×3, first 2 shown]
	s_wait_loadcnt 0x9
	v_lshrrev_b32_e32 v6, 16, v7
	s_wait_loadcnt 0x8
	v_lshrrev_b32_e32 v18, 16, v8
	;; [unrolled: 2-line block ×5, first 2 shown]
	v_mul_f16_e32 v17, v3, v7
	v_mul_f16_e32 v3, v3, v6
	;; [unrolled: 1-line block ×4, first 2 shown]
	s_wait_loadcnt 0x4
	v_lshrrev_b32_e32 v16, 16, v12
	v_fma_f16 v6, v9, v6, -v17
	v_fmac_f16_e32 v3, v9, v7
	s_wait_loadcnt 0x3
	v_lshrrev_b32_e32 v20, 16, v13
	v_fmac_f16_e32 v5, v10, v8
	s_wait_loadcnt 0x2
	v_lshrrev_b32_e32 v9, 16, v0
	v_mul_f16_e32 v17, v15, v0
	s_wait_loadcnt 0x1
	v_lshrrev_b32_e32 v8, 16, v1
	v_fma_f16 v7, v10, v18, -v19
	s_wait_loadcnt 0x0
	v_lshrrev_b32_e32 v10, 16, v2
	v_mul_f16_e32 v15, v15, v9
	v_fma_f16 v9, v11, v9, -v17
	v_mul_f16_e32 v17, v16, v1
	v_mul_f16_e32 v16, v16, v8
	;; [unrolled: 1-line block ×4, first 2 shown]
	v_fmac_f16_e32 v15, v11, v0
	v_fma_f16 v0, v12, v8, -v17
	v_fmac_f16_e32 v16, v12, v1
	v_fmac_f16_e32 v18, v13, v2
	v_fma_f16 v1, v13, v10, -v19
	v_pack_b32_f16 v2, v3, v6
	v_pack_b32_f16 v3, v5, v7
	;; [unrolled: 1-line block ×5, first 2 shown]
	ds_store_b32 v64, v2 offset:1500
	ds_store_b32 v64, v3 offset:3100
	;; [unrolled: 1-line block ×5, first 2 shown]
.LBB0_3:
	s_wait_alu 0xfffe
	s_or_b32 exec_lo, exec_lo, s12
	v_add_nc_u32_e32 v0, 0x300, v64
	v_add_nc_u32_e32 v1, 0xc00, v64
	;; [unrolled: 1-line block ×4, first 2 shown]
	global_wb scope:SCOPE_SE
	s_wait_dscnt 0x0
	s_wait_kmcnt 0x0
	s_barrier_signal -1
	s_barrier_wait -1
	global_inv scope:SCOPE_SE
	ds_load_2addr_b32 v[12:13], v64 offset1:125
	ds_load_2addr_b32 v[6:7], v0 offset0:58 offset1:208
	ds_load_2addr_b32 v[10:11], v1 offset0:32 offset1:157
	;; [unrolled: 1-line block ×6, first 2 shown]
	ds_load_b32 v14, v64 offset:7400
                                        ; implicit-def: $vgpr17
                                        ; implicit-def: $vgpr18
                                        ; implicit-def: $vgpr16
                                        ; implicit-def: $vgpr15
                                        ; implicit-def: $vgpr19
	s_and_saveexec_b32 s2, vcc_lo
	s_cbranch_execz .LBB0_5
; %bb.4:
	ds_load_b32 v19, v64 offset:1500
	ds_load_b32 v18, v64 offset:3100
	ds_load_b32 v17, v64 offset:4700
	ds_load_b32 v16, v64 offset:6300
	ds_load_b32 v15, v64 offset:7900
.LBB0_5:
	s_wait_alu 0xfffe
	s_or_b32 exec_lo, exec_lo, s2
	s_wait_dscnt 0x0
	v_pk_add_f16 v23, v18, v15 neg_lo:[0,1] neg_hi:[0,1]
	v_pk_add_f16 v26, v17, v16
	v_pk_add_f16 v24, v17, v16 neg_lo:[0,1] neg_hi:[0,1]
	v_pk_add_f16 v25, v18, v19
	v_pk_add_f16 v27, v18, v15
	v_pk_mul_f16 v32, 0x3b9c, v23 op_sel_hi:[0,1]
	v_pk_fma_f16 v26, v26, 0.5, v19 op_sel_hi:[1,0,1] neg_lo:[1,0,0] neg_hi:[1,0,0]
	v_pk_mul_f16 v33, 0x38b4, v24 op_sel_hi:[0,1]
	v_pk_add_f16 v25, v17, v25
	v_pk_fma_f16 v19, v27, 0.5, v19 op_sel_hi:[1,0,1] neg_lo:[1,0,0] neg_hi:[1,0,0]
	v_pk_mul_f16 v24, 0x3b9c, v24 op_sel_hi:[0,1]
	v_pk_add_f16 v27, v26, v32 op_sel:[0,1] op_sel_hi:[1,0] neg_lo:[0,1] neg_hi:[0,1]
	v_pk_add_f16 v26, v26, v32 op_sel:[0,1] op_sel_hi:[1,0]
	v_pk_add_f16 v28, v17, v18 neg_lo:[0,1] neg_hi:[0,1]
	v_pk_add_f16 v29, v16, v15 neg_lo:[0,1] neg_hi:[0,1]
	;; [unrolled: 1-line block ×4, first 2 shown]
	v_pk_add_f16 v32, v19, v24 op_sel:[0,1] op_sel_hi:[1,0] neg_lo:[0,1] neg_hi:[0,1]
	v_pk_mul_f16 v23, 0x38b4, v23 op_sel_hi:[0,1]
	v_pk_add_f16 v16, v16, v25
	v_pk_add_f16 v25, v27, v33 op_sel:[0,1] op_sel_hi:[1,0] neg_lo:[0,1] neg_hi:[0,1]
	v_pk_add_f16 v26, v26, v33 op_sel:[0,1] op_sel_hi:[1,0]
	v_pk_add_f16 v19, v24, v19 op_sel:[1,0] op_sel_hi:[0,1]
	v_pk_add_f16 v17, v17, v18
	v_pk_add_f16 v18, v23, v32 op_sel:[1,0] op_sel_hi:[0,1]
	v_pk_add_f16 v24, v28, v29
	v_bfi_b32 v27, 0xffff, v26, v25
	v_bfi_b32 v25, 0xffff, v25, v26
	v_pk_add_f16 v32, v15, v16
	v_pk_add_f16 v15, v19, v23 op_sel:[0,1] op_sel_hi:[1,0] neg_lo:[0,1] neg_hi:[0,1]
	v_mul_lo_u16 v16, v87, 5
	v_pk_fma_f16 v33, 0x34f2, v17, v27 op_sel_hi:[0,1,1]
	v_pk_fma_f16 v35, 0x34f2, v17, v25 op_sel_hi:[0,1,1]
	v_pk_add_f16 v17, v7, v8 neg_lo:[0,1] neg_hi:[0,1]
	v_pk_fma_f16 v37, 0x34f2, v24, v15 op_sel_hi:[0,1,1]
	v_and_b32_e32 v15, 0xffff, v16
	v_pk_add_f16 v16, v10, v3
	v_add_co_u32 v46, s2, 0x7d, v87
	v_pk_fma_f16 v34, 0x34f2, v24, v18 op_sel_hi:[0,1,1]
	s_delay_alu instid0(VALU_DEP_4)
	v_lshlrev_b32_e32 v96, 2, v15
	v_pk_add_f16 v15, v10, v3 neg_lo:[0,1] neg_hi:[0,1]
	v_pk_fma_f16 v16, v16, 0.5, v12 op_sel_hi:[1,0,1] neg_lo:[1,0,0] neg_hi:[1,0,0]
	v_pk_mul_f16 v18, 0x3b9c, v17 op_sel_hi:[0,1]
	v_pk_add_f16 v19, v7, v8
	s_wait_alu 0xf1ff
	v_add_co_ci_u32_e64 v20, null, 0, 0, s2
	v_add_co_u32 v30, s2, 0xfa, v87
	s_wait_alu 0xf1ff
	v_add_co_ci_u32_e64 v20, null, 0, 0, s2
	v_pk_add_f16 v20, v12, v7
	v_pk_mul_f16 v23, 0x38b4, v15 op_sel_hi:[0,1]
	v_pk_add_f16 v25, v16, v18 op_sel:[0,1] op_sel_hi:[1,0]
	v_pk_fma_f16 v12, v19, 0.5, v12 op_sel_hi:[1,0,1] neg_lo:[1,0,0] neg_hi:[1,0,0]
	v_pk_mul_f16 v15, 0x3b9c, v15 op_sel_hi:[0,1]
	v_pk_add_f16 v16, v16, v18 op_sel:[0,1] op_sel_hi:[1,0] neg_lo:[0,1] neg_hi:[0,1]
	v_pk_mul_f16 v17, 0x38b4, v17 op_sel_hi:[0,1]
	v_pk_add_f16 v18, v25, v23 op_sel:[0,1] op_sel_hi:[1,0]
	v_pk_add_f16 v20, v20, v10
	v_pk_add_f16 v25, v12, v15 op_sel:[0,1] op_sel_hi:[1,0] neg_lo:[0,1] neg_hi:[0,1]
	v_pk_add_f16 v12, v12, v15 op_sel:[0,1] op_sel_hi:[1,0]
	v_pk_add_f16 v24, v7, v10 neg_lo:[0,1] neg_hi:[0,1]
	v_pk_add_f16 v19, v8, v3 neg_lo:[0,1] neg_hi:[0,1]
	v_pk_add_f16 v15, v16, v23 op_sel:[0,1] op_sel_hi:[1,0] neg_lo:[0,1] neg_hi:[0,1]
	v_pk_add_f16 v7, v10, v7 neg_lo:[0,1] neg_hi:[0,1]
	v_pk_add_f16 v10, v3, v8 neg_lo:[0,1] neg_hi:[0,1]
	v_pk_add_f16 v16, v25, v17 op_sel:[0,1] op_sel_hi:[1,0]
	v_pk_add_f16 v12, v12, v17 op_sel:[0,1] op_sel_hi:[1,0] neg_lo:[0,1] neg_hi:[0,1]
	v_pk_add_f16 v3, v20, v3
	v_pk_add_f16 v17, v24, v19
	v_bfi_b32 v19, 0xffff, v18, v15
	v_pk_add_f16 v7, v7, v10
	v_bfi_b32 v10, 0xffff, v16, v12
	v_bfi_b32 v12, 0xffff, v12, v16
	;; [unrolled: 1-line block ×3, first 2 shown]
	v_pk_add_f16 v3, v3, v8
	v_pk_fma_f16 v8, 0x34f2, v17, v19 op_sel_hi:[0,1,1]
	v_pk_fma_f16 v10, 0x34f2, v7, v10 op_sel_hi:[0,1,1]
	;; [unrolled: 1-line block ×4, first 2 shown]
	v_pk_add_f16 v15, v11, v0
	v_pk_add_f16 v16, v4, v9 neg_lo:[0,1] neg_hi:[0,1]
	global_wb scope:SCOPE_SE
	s_barrier_signal -1
	s_barrier_wait -1
	global_inv scope:SCOPE_SE
	ds_store_2addr_b32 v96, v3, v8 offset1:1
	ds_store_2addr_b32 v96, v10, v7 offset0:2 offset1:3
	ds_store_b32 v96, v12 offset:16
	v_pk_add_f16 v7, v11, v0 neg_lo:[0,1] neg_hi:[0,1]
	v_pk_fma_f16 v8, v15, 0.5, v13 op_sel_hi:[1,0,1] neg_lo:[1,0,0] neg_hi:[1,0,0]
	v_pk_mul_f16 v10, 0x3b9c, v16 op_sel_hi:[0,1]
	v_pk_add_f16 v12, v4, v9
	v_pk_add_f16 v21, v13, v4
	v_pk_mul_f16 v17, 0x38b4, v7 op_sel_hi:[0,1]
	v_pk_mul_f16 v7, 0x3b9c, v7 op_sel_hi:[0,1]
	v_pk_add_f16 v19, v8, v10 op_sel:[0,1] op_sel_hi:[1,0]
	v_pk_fma_f16 v12, v12, 0.5, v13 op_sel_hi:[1,0,1] neg_lo:[1,0,0] neg_hi:[1,0,0]
	v_pk_add_f16 v8, v8, v10 op_sel:[0,1] op_sel_hi:[1,0] neg_lo:[0,1] neg_hi:[0,1]
	v_pk_mul_f16 v16, 0x38b4, v16 op_sel_hi:[0,1]
	v_mul_u32_u24_e32 v3, 5, v46
	v_pk_add_f16 v10, v19, v17 op_sel:[0,1] op_sel_hi:[1,0]
	v_pk_add_f16 v19, v12, v7 op_sel:[0,1] op_sel_hi:[1,0] neg_lo:[0,1] neg_hi:[0,1]
	v_pk_add_f16 v7, v12, v7 op_sel:[0,1] op_sel_hi:[1,0]
	v_pk_add_f16 v15, v21, v11
	v_pk_add_f16 v18, v4, v11 neg_lo:[0,1] neg_hi:[0,1]
	v_pk_add_f16 v4, v11, v4 neg_lo:[0,1] neg_hi:[0,1]
	;; [unrolled: 1-line block ×3, first 2 shown]
	v_pk_add_f16 v12, v19, v16 op_sel:[0,1] op_sel_hi:[1,0]
	v_pk_add_f16 v7, v7, v16 op_sel:[0,1] op_sel_hi:[1,0] neg_lo:[0,1] neg_hi:[0,1]
	v_pk_add_f16 v13, v9, v0 neg_lo:[0,1] neg_hi:[0,1]
	v_pk_add_f16 v8, v8, v17 op_sel:[0,1] op_sel_hi:[1,0] neg_lo:[0,1] neg_hi:[0,1]
	v_pk_add_f16 v0, v15, v0
	v_pk_add_f16 v4, v4, v11
	v_bfi_b32 v11, 0xffff, v12, v7
	v_lshlrev_b32_e32 v97, 2, v3
	v_bfi_b32 v3, 0xffff, v7, v12
	v_pk_add_f16 v13, v18, v13
	v_bfi_b32 v15, 0xffff, v10, v8
	v_pk_add_f16 v0, v0, v9
	v_pk_fma_f16 v9, 0x34f2, v4, v11 op_sel_hi:[0,1,1]
	v_bfi_b32 v8, 0xffff, v8, v10
	v_mul_u32_u24_e32 v10, 5, v30
	v_pk_fma_f16 v3, 0x34f2, v4, v3 op_sel_hi:[0,1,1]
	v_pk_add_f16 v4, v2, v1
	v_pk_add_f16 v11, v5, v14 neg_lo:[0,1] neg_hi:[0,1]
	v_pk_fma_f16 v7, 0x34f2, v13, v15 op_sel_hi:[0,1,1]
	v_pk_fma_f16 v8, 0x34f2, v13, v8 op_sel_hi:[0,1,1]
	v_lshlrev_b32_e32 v98, 2, v10
	v_pk_add_f16 v10, v2, v1 neg_lo:[0,1] neg_hi:[0,1]
	v_pk_fma_f16 v4, v4, 0.5, v6 op_sel_hi:[1,0,1] neg_lo:[1,0,0] neg_hi:[1,0,0]
	v_pk_mul_f16 v12, 0x3b9c, v11 op_sel_hi:[0,1]
	v_pk_add_f16 v13, v5, v14
	v_pk_add_f16 v22, v6, v5
	v_pk_mul_f16 v16, 0x38b4, v10 op_sel_hi:[0,1]
	v_pk_mul_f16 v10, 0x3b9c, v10 op_sel_hi:[0,1]
	v_pk_add_f16 v18, v4, v12 op_sel:[0,1] op_sel_hi:[1,0]
	v_pk_fma_f16 v6, v13, 0.5, v6 op_sel_hi:[1,0,1] neg_lo:[1,0,0] neg_hi:[1,0,0]
	s_load_b64 s[0:1], s[0:1], 0x8
	v_pk_add_f16 v4, v4, v12 op_sel:[0,1] op_sel_hi:[1,0] neg_lo:[0,1] neg_hi:[0,1]
	v_pk_mul_f16 v11, 0x38b4, v11 op_sel_hi:[0,1]
	v_pk_add_f16 v12, v18, v16 op_sel:[0,1] op_sel_hi:[1,0]
	v_pk_add_f16 v18, v6, v10 op_sel:[0,1] op_sel_hi:[1,0] neg_lo:[0,1] neg_hi:[0,1]
	v_pk_add_f16 v6, v6, v10 op_sel:[0,1] op_sel_hi:[1,0]
	v_pk_add_f16 v15, v22, v2
	v_pk_add_f16 v17, v5, v2 neg_lo:[0,1] neg_hi:[0,1]
	v_pk_add_f16 v13, v14, v1 neg_lo:[0,1] neg_hi:[0,1]
	v_pk_add_f16 v4, v4, v16 op_sel:[0,1] op_sel_hi:[1,0] neg_lo:[0,1] neg_hi:[0,1]
	v_pk_add_f16 v2, v2, v5 neg_lo:[0,1] neg_hi:[0,1]
	v_pk_add_f16 v5, v1, v14 neg_lo:[0,1] neg_hi:[0,1]
	v_pk_add_f16 v10, v18, v11 op_sel:[0,1] op_sel_hi:[1,0]
	v_pk_add_f16 v6, v6, v11 op_sel:[0,1] op_sel_hi:[1,0] neg_lo:[0,1] neg_hi:[0,1]
	v_add_co_u32 v31, null, 0x177, v87
	v_pk_add_f16 v1, v15, v1
	v_pk_add_f16 v11, v17, v13
	v_bfi_b32 v13, 0xffff, v12, v4
	v_pk_add_f16 v2, v2, v5
	v_bfi_b32 v5, 0xffff, v10, v6
	v_bfi_b32 v6, 0xffff, v6, v10
	v_lshrrev_b32_e32 v36, 16, v34
	v_bfi_b32 v4, 0xffff, v4, v12
	v_mul_u32_u24_e32 v99, 5, v31
	v_pk_add_f16 v1, v1, v14
	v_pk_fma_f16 v10, 0x34f2, v11, v13 op_sel_hi:[0,1,1]
	v_pk_fma_f16 v5, 0x34f2, v2, v5 op_sel_hi:[0,1,1]
	;; [unrolled: 1-line block ×4, first 2 shown]
	ds_store_2addr_b32 v97, v0, v7 offset1:1
	ds_store_2addr_b32 v97, v9, v3 offset0:2 offset1:3
	ds_store_b32 v97, v8 offset:16
	ds_store_2addr_b32 v98, v1, v10 offset1:1
	ds_store_2addr_b32 v98, v5, v2 offset0:2 offset1:3
	ds_store_b32 v98, v4 offset:16
	s_and_saveexec_b32 s2, vcc_lo
	s_cbranch_execz .LBB0_7
; %bb.6:
	v_lshlrev_b32_e32 v0, 2, v99
	v_bfi_b32 v1, 0xffff, v34, v37
	v_perm_b32 v2, v36, v37, 0x5040100
	ds_store_2addr_b32 v0, v32, v33 offset1:1
	ds_store_2addr_b32 v0, v1, v2 offset0:2 offset1:3
	ds_store_b32 v0, v35 offset:16
.LBB0_7:
	s_wait_alu 0xfffe
	s_or_b32 exec_lo, exec_lo, s2
	v_add_nc_u32_e32 v0, 0x300, v64
	global_wb scope:SCOPE_SE
	s_wait_dscnt 0x0
	s_wait_kmcnt 0x0
	s_barrier_signal -1
	s_barrier_wait -1
	global_inv scope:SCOPE_SE
	ds_load_2addr_b32 v[18:19], v64 offset1:125
	ds_load_2addr_b32 v[16:17], v0 offset0:58 offset1:208
	v_add_nc_u32_e32 v0, 0xc00, v64
	v_add_nc_u32_e32 v1, 0x1000, v64
	;; [unrolled: 1-line block ×5, first 2 shown]
	ds_load_2addr_b32 v[28:29], v0 offset0:32 offset1:157
	ds_load_2addr_b32 v[20:21], v1 offset0:26 offset1:176
	ds_load_2addr_b32 v[26:27], v2 offset0:64 offset1:189
	ds_load_2addr_b32 v[24:25], v3 offset0:13 offset1:138
	ds_load_2addr_b32 v[22:23], v4 offset0:45 offset1:170
	ds_load_b32 v39, v64 offset:7400
	v_lshrrev_b32_e32 v40, 16, v33
	s_and_saveexec_b32 s2, vcc_lo
	s_cbranch_execz .LBB0_9
; %bb.8:
	ds_load_b32 v33, v64 offset:3100
	ds_load_b32 v0, v64 offset:6300
	;; [unrolled: 1-line block ×5, first 2 shown]
	s_wait_dscnt 0x4
	v_lshrrev_b32_e32 v40, 16, v33
	s_wait_dscnt 0x3
	v_lshrrev_b32_e32 v36, 16, v0
	s_wait_dscnt 0x2
	v_bfi_b32 v37, 0xffff, v0, v34
.LBB0_9:
	s_wait_alu 0xfffe
	s_or_b32 exec_lo, exec_lo, s2
	v_and_b32_e32 v52, 0xff, v87
	v_and_b32_e32 v53, 0xff, v46
	;; [unrolled: 1-line block ×4, first 2 shown]
	s_wait_dscnt 0x6
	v_lshrrev_b32_e32 v55, 16, v17
	v_mul_lo_u16 v0, 0xcd, v52
	v_mul_lo_u16 v1, 0xcd, v53
	v_mul_u32_u24_e32 v2, 0xcccd, v51
	s_wait_dscnt 0x5
	v_lshrrev_b32_e32 v56, 16, v28
	s_wait_dscnt 0x4
	v_lshrrev_b32_e32 v57, 16, v21
	v_lshrrev_b16 v54, 10, v0
	v_lshrrev_b16 v100, 10, v1
	v_lshrrev_b32_e32 v101, 18, v2
	s_wait_dscnt 0x3
	v_lshrrev_b32_e32 v58, 16, v26
	s_wait_dscnt 0x2
	v_lshrrev_b32_e32 v59, 16, v24
	v_mul_lo_u16 v0, v54, 5
	v_mul_lo_u16 v1, v100, 5
	v_and_b32_e32 v54, 0xffff, v54
	v_and_b32_e32 v100, 0xffff, v100
	v_lshrrev_b32_e32 v45, 16, v29
	v_sub_nc_u16 v0, v87, v0
	v_sub_nc_u16 v1, v46, v1
	s_wait_dscnt 0x1
	v_lshrrev_b32_e32 v44, 16, v22
	v_lshrrev_b32_e32 v43, 16, v27
	v_mul_u32_u24_e32 v110, 25, v100
	v_and_b32_e32 v60, 0xff, v0
	v_mul_u32_u24_e32 v0, 0xcccd, v50
	v_and_b32_e32 v61, 0xff, v1
	v_lshrrev_b32_e32 v41, 16, v25
	v_lshrrev_b32_e32 v42, 16, v20
	v_lshlrev_b32_e32 v1, 4, v60
	v_lshrrev_b32_e32 v62, 18, v0
	v_lshlrev_b32_e32 v2, 4, v61
	v_mul_lo_u16 v0, v101, 5
	v_lshrrev_b32_e32 v105, 16, v23
	global_load_b128 v[12:15], v1, s[0:1]
	s_wait_dscnt 0x0
	v_lshrrev_b32_e32 v106, 16, v39
	global_load_b128 v[8:11], v2, s[0:1]
	v_mul_lo_u16 v1, v62, 5
	v_sub_nc_u16 v102, v30, v0
	v_lshrrev_b32_e32 v107, 16, v37
	v_lshrrev_b32_e32 v108, 16, v35
	;; [unrolled: 1-line block ×3, first 2 shown]
	v_sub_nc_u16 v63, v31, v1
	v_lshlrev_b16 v0, 2, v102
	v_mad_u16 v101, v101, 25, v102
	v_mul_u32_u24_e32 v102, 25, v54
	v_lshrrev_b32_e32 v104, 16, v19
	v_lshlrev_b16 v1, 2, v63
	v_and_b32_e32 v0, 0xffff, v0
	v_mad_u16 v100, v62, 25, v63
	v_add_lshl_u32 v103, v102, v60, 2
	v_add_lshl_u32 v102, v110, v61, 2
	v_and_b32_e32 v1, 0xffff, v1
	v_lshlrev_b32_e32 v0, 2, v0
	v_lshrrev_b32_e32 v54, 16, v32
	v_lshrrev_b32_e32 v109, 16, v16
	v_and_b32_e32 v101, 0xffff, v101
	v_lshlrev_b32_e32 v1, 2, v1
	s_clause 0x1
	global_load_b128 v[4:7], v0, s[0:1]
	global_load_b128 v[0:3], v1, s[0:1]
	v_lshlrev_b32_e32 v101, 2, v101
	global_wb scope:SCOPE_SE
	s_wait_loadcnt 0x0
	s_barrier_signal -1
	s_barrier_wait -1
	global_inv scope:SCOPE_SE
	v_lshrrev_b32_e32 v131, 16, v12
	v_lshrrev_b32_e32 v129, 16, v13
	;; [unrolled: 1-line block ×8, first 2 shown]
	v_mul_f16_e64 v60, v55, v131
	v_mul_f16_e64 v61, v17, v131
	;; [unrolled: 1-line block ×4, first 2 shown]
	v_mul_f16_e32 v110, v57, v127
	v_mul_f16_e32 v111, v21, v127
	;; [unrolled: 1-line block ×4, first 2 shown]
	v_mul_f16_e64 v128, v59, v123
	v_mul_f16_e64 v130, v24, v123
	;; [unrolled: 1-line block ×8, first 2 shown]
	v_fmac_f16_e32 v61, v55, v12
	v_fmac_f16_e32 v63, v56, v13
	v_lshrrev_b32_e32 v122, 16, v4
	v_lshrrev_b32_e32 v120, 16, v5
	;; [unrolled: 1-line block ×8, first 2 shown]
	v_fmac_f16_e32 v111, v57, v14
	v_fmac_f16_e32 v125, v58, v15
	v_fmac_f16_e64 v130, v59, v8
	v_fma_f16 v17, v17, v12, -v60
	v_fma_f16 v28, v28, v13, -v62
	;; [unrolled: 1-line block ×6, first 2 shown]
	v_fmac_f16_e64 v133, v45, v9
	v_fma_f16 v22, v22, v10, -v134
	v_fmac_f16_e64 v135, v44, v10
	v_fma_f16 v27, v27, v11, -v136
	v_fmac_f16_e64 v137, v43, v11
	v_mul_f16_e32 v43, v41, v122
	v_mul_f16_e32 v44, v25, v122
	;; [unrolled: 1-line block ×12, first 2 shown]
	v_mul_f16_e64 v128, v36, v113
	v_mul_f16_e64 v132, v37, v113
	;; [unrolled: 1-line block ×4, first 2 shown]
	v_fma_f16 v25, v25, v4, -v43
	v_fma_f16 v20, v20, v5, -v45
	;; [unrolled: 1-line block ×3, first 2 shown]
	v_fmac_f16_e32 v44, v41, v4
	v_fmac_f16_e32 v55, v42, v5
	;; [unrolled: 1-line block ×3, first 2 shown]
	v_fma_f16 v39, v39, v7, -v57
	v_fmac_f16_e32 v110, v106, v7
	v_fma_f16 v33, v33, v0, -v58
	v_fmac_f16_e32 v59, v40, v0
	;; [unrolled: 2-line block ×3, first 2 shown]
	v_fma_f16 v37, v37, v2, -v128
	v_fmac_f16_e64 v132, v36, v2
	v_fma_f16 v35, v35, v3, -v134
	v_fmac_f16_e64 v136, v108, v3
	v_sub_f16_e32 v36, v17, v28
	v_sub_f16_e32 v40, v26, v21
	;; [unrolled: 1-line block ×4, first 2 shown]
	v_add_f16_e32 v43, v38, v61
	v_add_f16_e32 v45, v63, v111
	v_sub_f16_e32 v56, v61, v63
	v_sub_f16_e32 v57, v125, v111
	v_add_f16_e32 v58, v61, v125
	v_sub_f16_e32 v62, v63, v61
	v_sub_f16_e32 v105, v111, v125
	;; [unrolled: 1-line block ×4, first 2 shown]
	v_add_f16_e32 v108, v29, v22
	v_add_f16_e64 v128, v24, v27
	v_add_f16_e64 v134, v19, v24
	v_sub_f16_e64 v138, v29, v24
	v_sub_f16_e64 v139, v22, v27
	;; [unrolled: 1-line block ×4, first 2 shown]
	v_add_f16_e64 v142, v133, v135
	v_add_f16_e64 v143, v130, v137
	v_add_f16_e64 v144, v104, v130
	v_sub_f16_e64 v145, v133, v130
	v_sub_f16_e64 v146, v135, v137
	v_add_f16_e64 v147, v18, v17
	v_add_f16_e64 v148, v28, v21
	;; [unrolled: 1-line block ×3, first 2 shown]
	v_sub_f16_e64 v149, v28, v21
	v_sub_f16_e64 v150, v63, v111
	;; [unrolled: 1-line block ×4, first 2 shown]
	v_sub_f16_e32 v17, v17, v26
	v_sub_f16_e32 v61, v61, v125
	v_add_f16_e32 v36, v36, v40
	v_add_f16_e32 v40, v41, v42
	;; [unrolled: 1-line block ×3, first 2 shown]
	v_fma_f16 v42, -0.5, v45, v38
	v_fmac_f16_e32 v38, -0.5, v58
	v_add_f16_e32 v45, v62, v105
	v_add_f16_e32 v56, v106, v107
	v_fma_f16 v105, -0.5, v108, v19
	v_fmac_f16_e64 v19, -0.5, v128
	v_add_f16_e64 v106, v138, v139
	v_add_f16_e64 v107, v140, v141
	v_fma_f16 v108, -0.5, v142, v104
	v_fmac_f16_e64 v104, -0.5, v143
	v_add_f16_e64 v128, v145, v146
	v_add_f16_e64 v28, v147, v28
	v_add_f16_e32 v43, v43, v63
	v_add_f16_e64 v29, v134, v29
	v_add_f16_e64 v57, v144, v133
	v_sub_f16_e32 v58, v25, v20
	v_sub_f16_e32 v62, v39, v23
	v_add_f16_e32 v63, v20, v23
	v_add_f16_e64 v133, v25, v39
	v_sub_f16_e64 v138, v20, v25
	v_sub_f16_e64 v139, v23, v39
	;; [unrolled: 1-line block ×4, first 2 shown]
	v_add_f16_e64 v142, v55, v60
	v_sub_f16_e64 v145, v55, v44
	v_sub_f16_e64 v146, v60, v110
	;; [unrolled: 1-line block ×6, first 2 shown]
	v_fma_f16 v148, -0.5, v148, v18
	v_add_f16_e64 v165, v34, v37
	v_add_f16_e64 v166, v33, v35
	;; [unrolled: 1-line block ×5, first 2 shown]
	v_fma_f16 v18, -0.5, v153, v18
	v_sub_f16_e32 v24, v24, v27
	v_sub_f16_e64 v130, v130, v137
	v_add_f16_e64 v134, v16, v25
	v_add_f16_e64 v144, v109, v44
	v_sub_f16_e64 v155, v34, v33
	v_sub_f16_e64 v156, v37, v35
	v_add_f16_e64 v159, v124, v132
	v_add_f16_e64 v160, v59, v136
	v_sub_f16_e64 v162, v124, v59
	v_sub_f16_e32 v25, v25, v39
	v_sub_f16_e32 v44, v44, v110
	v_sub_f16_e64 v170, v59, v136
	v_add_f16_e32 v21, v28, v21
	v_add_f16_e32 v28, v43, v111
	;; [unrolled: 1-line block ×3, first 2 shown]
	v_add_f16_e64 v29, v57, v135
	v_add_f16_e32 v43, v58, v62
	v_fma_f16 v111, -0.5, v63, v16
	v_fmac_f16_e64 v16, -0.5, v133
	v_add_f16_e64 v133, v138, v139
	v_add_f16_e64 v135, v140, v141
	v_fma_f16 v138, -0.5, v142, v109
	v_add_f16_e64 v139, v145, v146
	v_add_f16_e64 v140, v147, v154
	;; [unrolled: 1-line block ×3, first 2 shown]
	v_fma_f16 v145, 0x3b9c, v61, v148
	v_fma_f16 v147, 0xbb9c, v17, v42
	;; [unrolled: 1-line block ×3, first 2 shown]
	v_fmac_f16_e64 v104, 0xbb9c, v151
	v_fma_f16 v59, -0.5, v165, v32
	v_fma_f16 v58, -0.5, v166, v32
	v_add_f16_e64 v32, v167, v34
	v_sub_f16_e64 v153, v20, v23
	v_sub_f16_e64 v164, v55, v60
	;; [unrolled: 1-line block ×3, first 2 shown]
	v_fmac_f16_e64 v109, -0.5, v143
	v_fma_f16 v146, 0xbb9c, v150, v18
	v_fmac_f16_e64 v18, 0x3b9c, v150
	v_fma_f16 v154, 0x3b9c, v149, v38
	v_fmac_f16_e64 v38, 0xbb9c, v149
	v_add_f16_e64 v34, v161, v124
	v_fmac_f16_e64 v148, 0xbb9c, v61
	v_fmac_f16_e32 v42, 0x3b9c, v17
	v_sub_f16_e64 v169, v124, v132
	v_sub_f16_e32 v33, v33, v35
	v_add_f16_e64 v141, v155, v156
	v_fma_f16 v57, -0.5, v159, v54
	v_fmac_f16_e64 v54, -0.5, v160
	v_fma_f16 v155, 0x3b9c, v130, v105
	v_fma_f16 v156, 0xbb9c, v152, v19
	v_fmac_f16_e64 v19, 0x3b9c, v152
	v_fma_f16 v157, 0xbb9c, v24, v108
	v_add_f16_e64 v20, v134, v20
	v_add_f16_e64 v55, v144, v55
	v_fmac_f16_e64 v105, 0xbb9c, v130
	v_fmac_f16_e32 v108, 0x3b9c, v24
	v_add_f16_e32 v21, v21, v26
	v_fmac_f16_e64 v145, 0x38b4, v150
	v_add_f16_e32 v26, v28, v125
	v_fmac_f16_e64 v147, 0xb8b4, v149
	v_fmac_f16_e64 v158, 0xb8b4, v24
	v_fmac_f16_e32 v104, 0x38b4, v24
	v_add_f16_e32 v24, v32, v37
	v_fmamk_f16 v28, v44, 0x3b9c, v111
	v_fma_f16 v32, 0xbb9c, v25, v138
	v_fmac_f16_e64 v146, 0x38b4, v61
	v_fmac_f16_e32 v18, 0xb8b4, v61
	v_fmac_f16_e64 v154, 0xb8b4, v17
	v_fmac_f16_e32 v38, 0x38b4, v17
	v_add_f16_e32 v17, v22, v27
	v_add_f16_e64 v22, v29, v137
	v_add_f16_e64 v27, v34, v132
	v_fma_f16 v29, 0xbb9c, v164, v16
	v_fmac_f16_e64 v16, 0x3b9c, v164
	v_fma_f16 v34, 0x3b9c, v153, v109
	v_fmac_f16_e64 v109, 0xbb9c, v153
	v_fmac_f16_e64 v148, 0xb8b4, v150
	;; [unrolled: 1-line block ×3, first 2 shown]
	v_fmac_f16_e32 v111, 0xbb9c, v44
	v_fmac_f16_e64 v138, 0x3b9c, v25
	v_sub_f16_e64 v163, v132, v136
	v_fmac_f16_e64 v155, 0x38b4, v152
	v_fmac_f16_e64 v156, 0x38b4, v130
	;; [unrolled: 1-line block ×4, first 2 shown]
	v_add_f16_e32 v20, v20, v23
	v_add_f16_e32 v23, v55, v60
	v_fma_f16 v60, 0x3b9c, v170, v59
	v_fmac_f16_e64 v59, 0xbb9c, v170
	v_fma_f16 v61, 0xbb9c, v169, v58
	v_fmac_f16_e64 v58, 0x3b9c, v169
	v_fmamk_f16 v62, v33, 0xbb9c, v57
	v_fmac_f16_e32 v57, 0x3b9c, v33
	v_fma_f16 v63, 0x3b9c, v168, v54
	v_fmac_f16_e64 v54, 0xbb9c, v168
	v_fmac_f16_e64 v105, 0xb8b4, v152
	;; [unrolled: 1-line block ×8, first 2 shown]
	v_fmac_f16_e32 v18, 0x34f2, v40
	v_fmac_f16_e64 v154, 0x34f2, v45
	v_fmac_f16_e32 v38, 0x34f2, v45
	v_fmac_f16_e32 v29, 0x38b4, v44
	;; [unrolled: 1-line block ×5, first 2 shown]
	v_fmac_f16_e64 v148, 0x34f2, v36
	v_fmac_f16_e32 v42, 0x34f2, v41
	v_fmac_f16_e64 v111, 0xb8b4, v164
	v_fmac_f16_e64 v138, 0x38b4, v153
	v_add_f16_e64 v143, v162, v163
	v_fmac_f16_e64 v155, 0x34f2, v56
	v_fmac_f16_e64 v156, 0x34f2, v106
	v_fmac_f16_e32 v19, 0x34f2, v106
	v_fmac_f16_e64 v157, 0x34f2, v107
	v_fmac_f16_e64 v158, 0x34f2, v128
	;; [unrolled: 1-line block ×9, first 2 shown]
	v_fmac_f16_e32 v63, 0xb8b4, v33
	v_fmac_f16_e32 v54, 0x38b4, v33
	v_fmac_f16_e32 v105, 0x34f2, v56
	v_fmac_f16_e32 v108, 0x34f2, v107
	v_add_f16_e32 v20, v20, v39
	v_add_f16_e32 v23, v23, v110
	v_pack_b32_f16 v21, v21, v26
	v_pack_b32_f16 v17, v17, v22
	v_fmac_f16_e32 v28, 0x34f2, v43
	v_fmac_f16_e64 v32, 0x34f2, v135
	v_pack_b32_f16 v22, v145, v147
	v_add_f16_e32 v55, v24, v35
	v_fmac_f16_e64 v29, 0x34f2, v133
	v_fmac_f16_e64 v16, 0x34f2, v133
	;; [unrolled: 1-line block ×4, first 2 shown]
	v_pack_b32_f16 v24, v146, v154
	v_pack_b32_f16 v18, v18, v38
	v_fmac_f16_e32 v111, 0x34f2, v43
	v_fmac_f16_e64 v138, 0x34f2, v135
	v_pack_b32_f16 v25, v148, v42
	v_add_f16_e64 v56, v27, v136
	v_fmac_f16_e64 v60, 0x34f2, v140
	v_fmac_f16_e64 v59, 0x34f2, v140
	;; [unrolled: 1-line block ×8, first 2 shown]
	v_pack_b32_f16 v26, v155, v157
	v_pack_b32_f16 v27, v156, v158
	;; [unrolled: 1-line block ×5, first 2 shown]
	ds_store_2addr_b32 v103, v21, v22 offset1:5
	ds_store_2addr_b32 v103, v24, v18 offset0:10 offset1:15
	ds_store_b32 v103, v25 offset:80
	ds_store_2addr_b32 v102, v17, v26 offset1:5
	v_pack_b32_f16 v17, v28, v32
	v_pack_b32_f16 v18, v29, v34
	;; [unrolled: 1-line block ×4, first 2 shown]
	ds_store_2addr_b32 v102, v27, v19 offset0:10 offset1:15
	ds_store_b32 v102, v33 offset:80
	ds_store_2addr_b32 v101, v20, v17 offset1:5
	ds_store_2addr_b32 v101, v18, v16 offset0:10 offset1:15
	ds_store_b32 v101, v21 offset:80
	s_and_saveexec_b32 s2, vcc_lo
	s_cbranch_execz .LBB0_11
; %bb.10:
	v_and_b32_e32 v16, 0xffff, v100
	v_perm_b32 v17, v56, v55, 0x5040100
	v_perm_b32 v18, v62, v60, 0x5040100
	;; [unrolled: 1-line block ×4, first 2 shown]
	v_lshlrev_b32_e32 v16, 2, v16
	v_perm_b32 v21, v57, v59, 0x5040100
	ds_store_2addr_b32 v16, v17, v18 offset1:5
	ds_store_2addr_b32 v16, v19, v20 offset0:10 offset1:15
	ds_store_b32 v16, v21 offset:80
.LBB0_11:
	s_wait_alu 0xfffe
	s_or_b32 exec_lo, exec_lo, s2
	v_add_nc_u32_e32 v16, 0x300, v64
	global_wb scope:SCOPE_SE
	s_wait_dscnt 0x0
	s_barrier_signal -1
	s_barrier_wait -1
	global_inv scope:SCOPE_SE
	ds_load_2addr_b32 v[34:35], v64 offset1:125
	ds_load_2addr_b32 v[32:33], v16 offset0:58 offset1:208
	v_add_nc_u32_e32 v16, 0xc00, v64
	v_add_nc_u32_e32 v17, 0x1000, v64
	;; [unrolled: 1-line block ×5, first 2 shown]
	ds_load_2addr_b32 v[44:45], v16 offset0:32 offset1:157
	ds_load_2addr_b32 v[36:37], v17 offset0:26 offset1:176
	;; [unrolled: 1-line block ×5, first 2 shown]
	ds_load_b32 v124, v64 offset:7400
	s_and_saveexec_b32 s2, vcc_lo
	s_cbranch_execz .LBB0_13
; %bb.12:
	ds_load_b32 v55, v64 offset:1500
	ds_load_b32 v60, v64 offset:3100
	;; [unrolled: 1-line block ×5, first 2 shown]
	s_wait_dscnt 0x4
	v_lshrrev_b32_e32 v56, 16, v55
	s_wait_dscnt 0x3
	v_lshrrev_b32_e32 v62, 16, v60
	;; [unrolled: 2-line block ×5, first 2 shown]
.LBB0_13:
	s_wait_alu 0xfffe
	s_or_b32 exec_lo, exec_lo, s2
	v_mul_lo_u16 v16, v52, 41
	v_mul_lo_u16 v17, v53, 41
	s_wait_dscnt 0x6
	v_lshrrev_b32_e32 v109, 16, v33
	s_wait_dscnt 0x5
	v_lshrrev_b32_e32 v110, 16, v44
	;; [unrolled: 2-line block ×3, first 2 shown]
	v_lshrrev_b16 v52, 10, v16
	v_lshrrev_b16 v53, 10, v17
	s_wait_dscnt 0x3
	v_lshrrev_b32_e32 v125, 16, v42
	s_wait_dscnt 0x2
	v_lshrrev_b32_e32 v128, 16, v40
	v_lshrrev_b32_e32 v130, 16, v45
	v_mul_lo_u16 v16, v52, 25
	v_mul_lo_u16 v17, v53, 25
	v_and_b32_e32 v52, 0xffff, v52
	v_and_b32_e32 v53, 0xffff, v53
	s_wait_dscnt 0x1
	v_lshrrev_b32_e32 v132, 16, v38
	v_sub_nc_u16 v16, v87, v16
	v_sub_nc_u16 v17, v46, v17
	v_lshrrev_b32_e32 v133, 16, v43
	v_mul_u32_u24_e32 v52, 0x7d, v52
	v_mul_u32_u24_e32 v53, 0x7d, v53
	v_and_b32_e32 v104, 0xff, v16
	v_and_b32_e32 v105, 0xff, v17
	v_lshrrev_b32_e32 v134, 16, v41
	v_lshrrev_b32_e32 v135, 16, v36
	;; [unrolled: 1-line block ×3, first 2 shown]
	v_lshlrev_b32_e32 v16, 4, v104
	v_lshlrev_b32_e32 v17, 4, v105
	v_add_lshl_u32 v105, v53, v105, 2
	s_wait_dscnt 0x0
	v_lshrrev_b32_e32 v137, 16, v124
	v_lshrrev_b32_e32 v46, 16, v32
	s_clause 0x1
	global_load_b128 v[24:27], v16, s[0:1] offset:80
	global_load_b128 v[20:23], v17, s[0:1] offset:80
	v_mul_u32_u24_e32 v16, 0x47af, v51
	v_mul_u32_u24_e32 v17, 0x47af, v50
	v_lshrrev_b32_e32 v50, 16, v34
	v_lshrrev_b32_e32 v51, 16, v35
	s_delay_alu instid0(VALU_DEP_4) | instskip(NEXT) | instid1(VALU_DEP_4)
	v_lshrrev_b32_e32 v16, 16, v16
	v_lshrrev_b32_e32 v17, 16, v17
	s_delay_alu instid0(VALU_DEP_2) | instskip(NEXT) | instid1(VALU_DEP_2)
	v_sub_nc_u16 v18, v30, v16
	v_sub_nc_u16 v19, v31, v17
	s_delay_alu instid0(VALU_DEP_2) | instskip(NEXT) | instid1(VALU_DEP_2)
	v_lshrrev_b16 v18, 1, v18
	v_lshrrev_b16 v19, 1, v19
	s_delay_alu instid0(VALU_DEP_2) | instskip(NEXT) | instid1(VALU_DEP_2)
	v_add_nc_u16 v16, v18, v16
	v_add_nc_u16 v17, v19, v17
	s_delay_alu instid0(VALU_DEP_2) | instskip(NEXT) | instid1(VALU_DEP_2)
	v_lshrrev_b16 v106, 4, v16
	v_lshrrev_b16 v16, 4, v17
	s_delay_alu instid0(VALU_DEP_2) | instskip(NEXT) | instid1(VALU_DEP_2)
	v_mul_lo_u16 v17, v106, 25
	v_mul_lo_u16 v16, v16, 25
	s_delay_alu instid0(VALU_DEP_2) | instskip(NEXT) | instid1(VALU_DEP_2)
	v_sub_nc_u16 v107, v30, v17
	v_sub_nc_u16 v108, v31, v16
	s_delay_alu instid0(VALU_DEP_2) | instskip(NEXT) | instid1(VALU_DEP_2)
	v_lshlrev_b16 v16, 4, v107
	v_lshlrev_b16 v17, 4, v108
	v_mad_u16 v106, 0x7d, v106, v107
	v_add_lshl_u32 v107, v52, v104, 2
	v_and_b32_e32 v104, 0xffff, v108
	v_and_b32_e32 v16, 0xffff, v16
	;; [unrolled: 1-line block ×4, first 2 shown]
	s_delay_alu instid0(VALU_DEP_3)
	v_add_co_u32 v16, s2, s0, v16
	s_wait_alu 0xf1ff
	v_add_co_ci_u32_e64 v17, null, s1, 0, s2
	v_add_co_u32 v18, s2, s0, v18
	s_wait_alu 0xf1ff
	v_add_co_ci_u32_e64 v19, null, s1, 0, s2
	s_clause 0x1
	global_load_b128 v[28:31], v[16:17], off offset:80
	global_load_b128 v[16:19], v[18:19], off offset:80
	global_wb scope:SCOPE_SE
	s_wait_loadcnt 0x0
	s_barrier_signal -1
	s_barrier_wait -1
	global_inv scope:SCOPE_SE
	v_lshlrev_b32_e32 v106, 2, v106
	v_lshrrev_b32_e32 v151, 16, v24
	v_lshrrev_b32_e32 v150, 16, v25
	;; [unrolled: 1-line block ×8, first 2 shown]
	v_mul_f16_e64 v52, v109, v151
	v_mul_f16_e64 v53, v33, v151
	;; [unrolled: 1-line block ×16, first 2 shown]
	v_fma_f16 v33, v33, v24, -v52
	v_fmac_f16_e32 v53, v109, v24
	v_fma_f16 v44, v44, v25, -v108
	v_fmac_f16_e64 v138, v110, v25
	v_fma_f16 v37, v37, v26, -v139
	v_fmac_f16_e64 v140, v111, v26
	;; [unrolled: 2-line block ×7, first 2 shown]
	v_add_f16_e32 v52, v34, v33
	v_add_f16_e32 v108, v44, v37
	v_sub_f16_e64 v125, v53, v142
	v_sub_f16_e32 v109, v33, v44
	v_add_f16_e32 v111, v33, v42
	v_sub_f16_e64 v130, v44, v33
	v_sub_f16_e64 v132, v37, v42
	v_add_f16_e64 v133, v50, v53
	v_add_f16_e64 v139, v138, v140
	v_sub_f16_e64 v141, v33, v42
	v_sub_f16_e64 v33, v53, v138
	;; [unrolled: 1-line block ×3, first 2 shown]
	v_add_f16_e64 v153, v53, v142
	v_sub_f16_e64 v53, v138, v53
	v_sub_f16_e64 v157, v140, v142
	v_add_f16_e64 v159, v35, v40
	v_add_f16_e64 v160, v45, v38
	v_sub_f16_e64 v161, v152, v158
	v_sub_f16_e64 v163, v40, v45
	;; [unrolled: 1-line block ×3, first 2 shown]
	v_add_f16_e64 v165, v40, v43
	v_add_f16_e64 v168, v51, v152
	v_add_f16_e64 v169, v154, v156
	v_sub_f16_e64 v171, v152, v154
	v_add_f16_e64 v173, v152, v158
	v_sub_f16_e64 v152, v154, v152
	v_sub_f16_e64 v174, v156, v158
	v_sub_f16_e32 v110, v42, v37
	v_sub_f16_e64 v128, v138, v140
	v_sub_f16_e64 v155, v44, v37
	;; [unrolled: 1-line block ×7, first 2 shown]
	v_add_f16_e32 v44, v52, v44
	v_fma_f16 v52, -0.5, v108, v34
	v_fma_f16 v176, -0.5, v111, v34
	v_add_f16_e64 v130, v130, v132
	v_add_f16_e64 v34, v133, v138
	v_fma_f16 v132, -0.5, v139, v50
	v_add_f16_e64 v133, v33, v149
	v_fmac_f16_e64 v50, -0.5, v153
	v_add_f16_e64 v53, v53, v157
	v_add_f16_e64 v33, v159, v45
	v_fma_f16 v45, -0.5, v160, v35
	v_add_f16_e64 v138, v163, v164
	v_fmac_f16_e64 v35, -0.5, v165
	v_add_f16_e64 v157, v168, v154
	v_fma_f16 v159, -0.5, v169, v51
	v_fmac_f16_e64 v51, -0.5, v173
	v_add_f16_e64 v163, v152, v174
	v_lshrrev_b32_e32 v154, 16, v28
	v_lshrrev_b32_e32 v153, 16, v29
	;; [unrolled: 1-line block ×4, first 2 shown]
	v_sub_f16_e32 v40, v40, v43
	v_add_f16_e64 v175, v109, v110
	v_lshrrev_b32_e32 v111, 16, v16
	v_lshrrev_b32_e32 v110, 16, v17
	;; [unrolled: 1-line block ×4, first 2 shown]
	v_add_f16_e64 v139, v166, v167
	v_add_f16_e64 v160, v171, v172
	v_fma_f16 v164, 0x3b9c, v125, v52
	v_fmac_f16_e32 v52, 0xbb9c, v125
	v_fma_f16 v165, 0xbb9c, v128, v176
	v_fmac_f16_e64 v176, 0x3b9c, v128
	v_fma_f16 v166, 0xbb9c, v141, v132
	v_fma_f16 v167, 0x3b9c, v155, v50
	v_fmac_f16_e64 v50, 0xbb9c, v155
	v_add_f16_e64 v168, v33, v38
	v_fma_f16 v171, 0xbb9c, v162, v35
	v_fmac_f16_e64 v35, 0x3b9c, v162
	v_add_f16_e64 v156, v157, v156
	v_fma_f16 v172, 0x3b9c, v170, v51
	v_fmac_f16_e64 v51, 0xbb9c, v170
	v_mul_f16_e64 v173, v134, v154
	v_mul_f16_e64 v174, v41, v154
	v_mul_f16_e64 v177, v135, v153
	v_mul_f16_e64 v178, v36, v153
	v_mul_f16_e64 v179, v136, v152
	v_mul_f16_e64 v180, v39, v152
	v_mul_f16_e64 v181, v137, v149
	v_mul_f16_e64 v182, v124, v149
	v_fmac_f16_e64 v132, 0x3b9c, v141
	v_fma_f16 v169, 0x3b9c, v161, v45
	v_fma_f16 v157, 0xbb9c, v40, v159
	v_add_f16_e32 v44, v44, v37
	v_add_f16_e64 v140, v34, v140
	v_mul_f16_e64 v183, v62, v111
	v_mul_f16_e32 v38, v60, v111
	v_mul_f16_e64 v184, v63, v110
	v_mul_f16_e32 v34, v61, v110
	;; [unrolled: 2-line block ×4, first 2 shown]
	v_fmac_f16_e64 v164, 0x38b4, v128
	v_fmac_f16_e64 v52, 0xb8b4, v128
	;; [unrolled: 1-line block ×7, first 2 shown]
	v_add_f16_e64 v43, v168, v43
	v_fmac_f16_e64 v35, 0xb8b4, v161
	v_add_f16_e64 v125, v156, v158
	v_fmac_f16_e32 v51, 0x38b4, v40
	v_fma_f16 v128, v41, v28, -v173
	v_fmac_f16_e64 v174, v134, v28
	v_fma_f16 v134, v36, v29, -v177
	v_fmac_f16_e64 v178, v135, v29
	;; [unrolled: 2-line block ×4, first 2 shown]
	v_fmac_f16_e64 v132, 0x38b4, v155
	v_fmac_f16_e64 v169, 0x38b4, v162
	;; [unrolled: 1-line block ×7, first 2 shown]
	v_fma_f16 v39, v60, v16, -v183
	v_fmac_f16_e32 v38, v62, v16
	v_fma_f16 v40, v61, v17, -v184
	v_fmac_f16_e32 v34, v63, v17
	;; [unrolled: 2-line block ×4, first 2 shown]
	v_add_f16_e32 v42, v44, v42
	v_add_f16_e64 v44, v140, v142
	v_fmac_f16_e64 v164, 0x34f2, v175
	v_fmac_f16_e64 v166, 0x34f2, v133
	;; [unrolled: 1-line block ×3, first 2 shown]
	v_fmac_f16_e32 v50, 0x34f2, v53
	v_fmac_f16_e64 v35, 0x34f2, v139
	v_fmac_f16_e64 v51, 0x34f2, v163
	v_pack_b32_f16 v43, v43, v125
	v_add_f16_e64 v53, v134, v135
	v_add_f16_e64 v60, v128, v124
	;; [unrolled: 1-line block ×3, first 2 shown]
	v_fmac_f16_e64 v165, 0x34f2, v130
	v_fmac_f16_e64 v176, 0x34f2, v130
	v_add_f16_e64 v137, v174, v182
	v_fmac_f16_e64 v52, 0x34f2, v175
	v_fmac_f16_e64 v132, 0x34f2, v133
	;; [unrolled: 1-line block ×8, first 2 shown]
	v_sub_f16_e64 v58, v128, v134
	v_sub_f16_e64 v59, v124, v135
	v_add_f16_e64 v63, v46, v174
	v_add_f16_e64 v140, v40, v41
	v_sub_f16_e64 v155, v39, v40
	v_sub_f16_e64 v156, v36, v41
	v_add_f16_e64 v158, v39, v36
	v_add_f16_e64 v163, v34, v37
	;; [unrolled: 1-line block ×3, first 2 shown]
	v_pack_b32_f16 v42, v42, v44
	v_add_f16_e64 v44, v32, v128
	v_sub_f16_e64 v54, v174, v182
	v_sub_f16_e64 v61, v134, v128
	;; [unrolled: 1-line block ×3, first 2 shown]
	v_pack_b32_f16 v164, v164, v166
	v_pack_b32_f16 v35, v35, v51
	v_fma_f16 v51, -0.5, v53, v32
	v_fmac_f16_e32 v32, -0.5, v60
	v_fma_f16 v60, -0.5, v125, v46
	v_sub_f16_e64 v57, v178, v180
	v_sub_f16_e64 v130, v134, v135
	v_pack_b32_f16 v165, v165, v167
	v_pack_b32_f16 v50, v176, v50
	v_fmac_f16_e64 v46, -0.5, v137
	v_pack_b32_f16 v52, v52, v132
	v_pack_b32_f16 v132, v169, v157
	v_fmac_f16_e64 v45, 0x34f2, v138
	v_fmac_f16_e64 v159, 0x34f2, v160
	v_sub_f16_e64 v141, v38, v33
	v_sub_f16_e64 v142, v34, v37
	;; [unrolled: 1-line block ×6, first 2 shown]
	v_pack_b32_f16 v166, v171, v172
	v_add_f16_e32 v53, v58, v59
	v_add_f16_e64 v59, v63, v178
	v_fma_f16 v162, -0.5, v140, v55
	v_add_f16_e64 v63, v155, v156
	v_fma_f16 v158, -0.5, v158, v55
	v_fma_f16 v156, -0.5, v163, v56
	;; [unrolled: 1-line block ×3, first 2 shown]
	v_sub_f16_e64 v62, v135, v124
	v_sub_f16_e64 v133, v174, v178
	;; [unrolled: 1-line block ×3, first 2 shown]
	v_add_f16_e64 v44, v44, v134
	ds_store_2addr_b32 v107, v42, v164 offset1:25
	ds_store_2addr_b32 v107, v165, v50 offset0:50 offset1:75
	ds_store_b32 v107, v52 offset:400
	ds_store_2addr_b32 v105, v43, v132 offset1:25
	ds_store_2addr_b32 v105, v166, v35 offset0:50 offset1:75
	v_fmamk_f16 v42, v54, 0x3b9c, v51
	v_fma_f16 v50, 0xbb9c, v128, v60
	v_sub_f16_e64 v138, v178, v174
	v_sub_f16_e64 v139, v180, v182
	v_fmamk_f16 v43, v57, 0xbb9c, v32
	v_fmac_f16_e32 v32, 0x3b9c, v57
	v_fma_f16 v52, 0x3b9c, v130, v46
	v_fmac_f16_e64 v46, 0xbb9c, v130
	v_fmac_f16_e32 v51, 0xbb9c, v54
	v_fmac_f16_e64 v60, 0x3b9c, v128
	v_sub_f16_e64 v173, v38, v34
	v_sub_f16_e64 v174, v33, v37
	;; [unrolled: 1-line block ×4, first 2 shown]
	v_pack_b32_f16 v45, v45, v159
	v_add_f16_e64 v125, v160, v161
	v_fma_f16 v163, 0x3b9c, v141, v162
	v_fmac_f16_e64 v162, 0xbb9c, v141
	v_fma_f16 v160, 0xbb9c, v142, v158
	v_fmac_f16_e64 v158, 0x3b9c, v142
	v_fma_f16 v159, 0xbb9c, v168, v156
	v_fmac_f16_e64 v156, 0x3b9c, v168
	v_fma_f16 v161, 0x3b9c, v170, v157
	v_fmac_f16_e64 v157, 0xbb9c, v170
	v_add_f16_e32 v58, v61, v62
	v_add_f16_e64 v61, v133, v136
	v_add_f16_e64 v35, v44, v135
	;; [unrolled: 1-line block ×3, first 2 shown]
	v_fmac_f16_e32 v42, 0x38b4, v57
	v_fmac_f16_e64 v50, 0xb8b4, v130
	v_add_f16_e64 v62, v138, v139
	v_fmac_f16_e32 v43, 0x38b4, v54
	v_fmac_f16_e32 v32, 0xb8b4, v54
	v_fmac_f16_e64 v52, 0xb8b4, v128
	v_fmac_f16_e64 v46, 0x38b4, v128
	v_fmac_f16_e32 v51, 0xb8b4, v57
	v_fmac_f16_e64 v60, 0x38b4, v130
	v_add_f16_e64 v133, v173, v174
	v_add_f16_e64 v134, v177, v179
	v_fmac_f16_e64 v163, 0x38b4, v142
	v_fmac_f16_e64 v162, 0xb8b4, v142
	;; [unrolled: 1-line block ×8, first 2 shown]
	v_add_f16_e32 v35, v35, v124
	v_add_f16_e64 v44, v44, v182
	v_fmac_f16_e32 v42, 0x34f2, v53
	v_fmac_f16_e32 v50, 0x34f2, v61
	;; [unrolled: 1-line block ×8, first 2 shown]
	v_fmac_f16_e64 v163, 0x34f2, v63
	v_fmac_f16_e64 v162, 0x34f2, v63
	;; [unrolled: 1-line block ×8, first 2 shown]
	v_pack_b32_f16 v35, v35, v44
	v_pack_b32_f16 v42, v42, v50
	;; [unrolled: 1-line block ×5, first 2 shown]
	ds_store_b32 v105, v45 offset:400
	ds_store_2addr_b32 v106, v35, v42 offset1:25
	ds_store_2addr_b32 v106, v43, v32 offset0:50 offset1:75
	ds_store_b32 v106, v44 offset:400
	s_and_saveexec_b32 s2, vcc_lo
	s_cbranch_execz .LBB0_15
; %bb.14:
	v_add_f16_e32 v32, v56, v38
	v_add_f16_e32 v35, v55, v39
	s_delay_alu instid0(VALU_DEP_2) | instskip(NEXT) | instid1(VALU_DEP_2)
	v_add_f16_e32 v32, v32, v34
	v_add_f16_e32 v34, v35, v40
	v_lshlrev_b32_e32 v35, 2, v104
	s_delay_alu instid0(VALU_DEP_3) | instskip(NEXT) | instid1(VALU_DEP_3)
	v_add_f16_e32 v32, v32, v37
	v_add_f16_e32 v34, v34, v41
	v_perm_b32 v37, v157, v158, 0x5040100
	s_delay_alu instid0(VALU_DEP_4) | instskip(NEXT) | instid1(VALU_DEP_4)
	v_add_nc_u32_e32 v38, 0x1c00, v35
	v_add_f16_e32 v32, v32, v33
	s_delay_alu instid0(VALU_DEP_4) | instskip(SKIP_2) | instid1(VALU_DEP_3)
	v_add_f16_e32 v33, v34, v36
	v_perm_b32 v36, v161, v160, 0x5040100
	v_perm_b32 v34, v159, v163, 0x5040100
	v_pack_b32_f16 v32, v33, v32
	v_perm_b32 v33, v156, v162, 0x5040100
	ds_store_2addr_b32 v38, v36, v37 offset0:133 offset1:158
	ds_store_2addr_b32 v38, v32, v34 offset0:83 offset1:108
	ds_store_b32 v35, v33 offset:7900
.LBB0_15:
	s_wait_alu 0xfffe
	s_or_b32 exec_lo, exec_lo, s2
	v_mad_co_u64_u32 v[44:45], null, v87, 60, s[0:1]
	global_wb scope:SCOPE_SE
	s_wait_dscnt 0x0
	s_barrier_signal -1
	s_barrier_wait -1
	global_inv scope:SCOPE_SE
	v_add_nc_u32_e32 v155, 0x200, v64
	v_add_nc_u32_e32 v51, 0x600, v64
	s_clause 0x3
	global_load_b128 v[36:39], v[44:45], off offset:480
	global_load_b128 v[40:43], v[44:45], off offset:496
	;; [unrolled: 1-line block ×3, first 2 shown]
	global_load_b96 v[44:46], v[44:45], off offset:528
	v_add_nc_u32_e32 v50, 0xa00, v64
	v_add_nc_u32_e32 v52, 0xe00, v64
	;; [unrolled: 1-line block ×5, first 2 shown]
	ds_load_2addr_b32 v[56:57], v64 offset1:125
	ds_load_2addr_b32 v[58:59], v155 offset0:122 offset1:247
	ds_load_2addr_b32 v[60:61], v51 offset0:116 offset1:241
	;; [unrolled: 1-line block ×7, first 2 shown]
	s_add_nc_u64 s[0:1], s[16:17], 0x1f40
	s_wait_dscnt 0x7
	v_lshrrev_b32_e32 v173, 16, v57
	s_wait_dscnt 0x6
	v_lshrrev_b32_e32 v174, 16, v58
	v_lshrrev_b32_e32 v175, 16, v59
	s_wait_dscnt 0x5
	v_lshrrev_b32_e32 v176, 16, v60
	;; [unrolled: 3-line block ×7, first 2 shown]
	v_lshrrev_b32_e32 v187, 16, v171
	v_lshrrev_b32_e32 v172, 16, v56
	s_wait_loadcnt 0x3
	v_lshrrev_b32_e32 v142, 16, v36
	v_lshrrev_b32_e32 v141, 16, v37
	v_lshrrev_b32_e32 v140, 16, v38
	v_lshrrev_b32_e32 v139, 16, v39
	s_wait_loadcnt 0x2
	v_lshrrev_b32_e32 v138, 16, v40
	v_lshrrev_b32_e32 v137, 16, v41
	;; [unrolled: 5-line block ×4, first 2 shown]
	v_lshrrev_b32_e32 v124, 16, v46
	v_mul_f16_e64 v188, v173, v142
	v_mul_f16_e64 v189, v57, v142
	;; [unrolled: 1-line block ×30, first 2 shown]
	v_fma_f16 v57, v57, v36, -v188
	v_fmac_f16_e64 v189, v173, v36
	v_fma_f16 v58, v58, v37, -v190
	v_fmac_f16_e64 v191, v174, v37
	;; [unrolled: 2-line block ×15, first 2 shown]
	v_sub_f16_e64 v164, v56, v164
	v_sub_f16_e64 v173, v172, v203
	;; [unrolled: 1-line block ×16, first 2 shown]
	v_fma_f16 v172, v172, 2.0, -v173
	v_fma_f16 v60, v60, 2.0, -v168
	v_fma_f16 v181, v195, 2.0, -v174
	v_fma_f16 v182, v191, 2.0, -v175
	v_fma_f16 v62, v62, 2.0, -v170
	v_fma_f16 v183, v199, 2.0, -v176
	v_fma_f16 v184, v189, 2.0, -v177
	v_fma_f16 v61, v61, 2.0, -v169
	v_fma_f16 v185, v197, 2.0, -v178
	v_fma_f16 v186, v193, 2.0, -v179
	v_fma_f16 v63, v63, 2.0, -v171
	v_fma_f16 v187, v201, 2.0, -v180
	v_sub_f16_e64 v174, v164, v174
	v_add_f16_e64 v168, v173, v168
	v_sub_f16_e64 v176, v166, v176
	v_add_f16_e64 v170, v175, v170
	;; [unrolled: 2-line block ×4, first 2 shown]
	v_fma_f16 v56, v56, 2.0, -v164
	v_fma_f16 v58, v58, 2.0, -v166
	;; [unrolled: 1-line block ×4, first 2 shown]
	v_sub_f16_e64 v181, v172, v181
	v_fma_f16 v188, v164, 2.0, -v174
	v_fma_f16 v173, v173, 2.0, -v168
	v_sub_f16_e64 v164, v182, v183
	v_fma_f16 v166, v166, 2.0, -v176
	v_fma_f16 v175, v175, 2.0, -v170
	;; [unrolled: 3-line block ×4, first 2 shown]
	v_fma_f16 v187, 0x39a8, v176, v174
	v_fma_f16 v189, 0x39a8, v170, v168
	v_sub_f16_e32 v60, v56, v60
	v_sub_f16_e32 v62, v58, v62
	;; [unrolled: 1-line block ×4, first 2 shown]
	v_fma_f16 v190, 0x39a8, v180, v178
	v_fma_f16 v191, 0x39a8, v171, v169
	v_fma_f16 v172, v172, 2.0, -v181
	v_fma_f16 v182, v182, 2.0, -v164
	;; [unrolled: 1-line block ×4, first 2 shown]
	v_fma_f16 v192, 0xb9a8, v166, v188
	v_fma_f16 v193, 0xb9a8, v175, v173
	v_fmac_f16_e64 v187, 0xb9a8, v170
	v_fmac_f16_e64 v189, 0x39a8, v176
	v_fma_f16 v170, 0xb9a8, v167, v185
	v_fma_f16 v176, 0xb9a8, v179, v177
	v_fma_f16 v56, v56, 2.0, -v60
	v_fma_f16 v58, v58, 2.0, -v62
	;; [unrolled: 1-line block ×4, first 2 shown]
	v_sub_f16_e64 v194, v60, v164
	v_add_f16_e64 v62, v181, v62
	v_sub_f16_e64 v195, v61, v165
	v_add_f16_e64 v63, v183, v63
	v_fmac_f16_e64 v190, 0xb9a8, v171
	v_fmac_f16_e64 v191, 0x39a8, v180
	v_sub_f16_e64 v171, v172, v182
	v_fmac_f16_e64 v192, 0xb9a8, v175
	v_fmac_f16_e64 v193, 0x39a8, v166
	v_sub_f16_e64 v175, v184, v186
	v_fmac_f16_e64 v170, 0xb9a8, v179
	v_fmac_f16_e64 v176, 0x39a8, v167
	v_sub_f16_e32 v58, v56, v58
	v_fma_f16 v60, v60, 2.0, -v194
	v_fma_f16 v166, v181, 2.0, -v62
	v_sub_f16_e32 v59, v57, v59
	v_fma_f16 v61, v61, 2.0, -v195
	v_fma_f16 v167, v183, 2.0, -v63
	v_fma_f16 v179, 0x39a8, v195, v194
	v_fma_f16 v180, 0x39a8, v63, v62
	;; [unrolled: 1-line block ×3, first 2 shown]
	v_fma_f16 v172, v172, 2.0, -v171
	v_fma_f16 v181, v188, 2.0, -v192
	;; [unrolled: 1-line block ×10, first 2 shown]
	v_fma_f16 v164, 0x3b64, v190, v187
	v_fma_f16 v56, v56, 2.0, -v58
	v_fma_f16 v57, v57, 2.0, -v59
	v_fma_f16 v184, 0xb9a8, v61, v60
	v_fma_f16 v185, 0xb9a8, v167, v166
	v_sub_f16_e64 v175, v58, v175
	v_add_f16_e64 v59, v171, v59
	v_fmac_f16_e64 v179, 0xb9a8, v63
	v_fmac_f16_e64 v180, 0x39a8, v195
	;; [unrolled: 1-line block ×3, first 2 shown]
	v_sub_f16_e64 v63, v172, v182
	v_fma_f16 v182, 0xbb64, v183, v181
	v_fma_f16 v190, 0xbb64, v177, v173
	;; [unrolled: 1-line block ×6, first 2 shown]
	v_sub_f16_e32 v57, v56, v57
	v_fmac_f16_e64 v184, 0xb9a8, v167
	v_fmac_f16_e64 v185, 0x39a8, v61
	v_fma_f16 v58, v58, 2.0, -v175
	v_fma_f16 v61, v171, 2.0, -v59
	v_fma_f16 v167, v194, 2.0, -v179
	v_fma_f16 v62, v62, 2.0, -v180
	v_fmac_f16_e64 v182, 0xb61f, v177
	v_fmac_f16_e64 v190, 0x361f, v183
	;; [unrolled: 1-line block ×7, first 2 shown]
	v_fma_f16 v56, v56, 2.0, -v57
	v_fma_f16 v172, v172, 2.0, -v63
	v_pack_b32_f16 v58, v58, v61
	v_pack_b32_f16 v61, v167, v62
	;; [unrolled: 1-line block ×3, first 2 shown]
	v_fma_f16 v63, v181, 2.0, -v182
	v_fma_f16 v167, v173, 2.0, -v190
	;; [unrolled: 1-line block ×10, first 2 shown]
	v_pack_b32_f16 v56, v56, v172
	v_pack_b32_f16 v63, v63, v167
	;; [unrolled: 1-line block ×13, first 2 shown]
	ds_store_2addr_b32 v64, v56, v63 offset1:125
	ds_store_2addr_b32 v155, v60, v166 offset0:122 offset1:247
	ds_store_2addr_b32 v51, v58, v167 offset0:116 offset1:241
	;; [unrolled: 1-line block ×7, first 2 shown]
	global_wb scope:SCOPE_SE
	s_wait_dscnt 0x0
	s_barrier_signal -1
	s_barrier_wait -1
	global_inv scope:SCOPE_SE
	s_clause 0xe
	global_load_b32 v57, v[47:48], off offset:8000
	global_load_b32 v176, v64, s[0:1] offset:1600
	global_load_b32 v177, v64, s[0:1] offset:3200
	;; [unrolled: 1-line block ×14, first 2 shown]
	ds_load_2addr_b32 v[60:61], v64 offset1:125
	ds_load_b32 v190, v64 offset:7400
	v_add_nc_u32_e32 v56, 0x300, v64
	v_add_nc_u32_e32 v59, 0x1000, v64
	;; [unrolled: 1-line block ×6, first 2 shown]
	s_wait_dscnt 0x1
	v_lshrrev_b32_e32 v62, 16, v60
	v_lshrrev_b32_e32 v191, 16, v61
	s_wait_dscnt 0x0
	v_lshrrev_b32_e32 v192, 16, v190
	s_wait_loadcnt 0xd
	v_lshrrev_b32_e32 v193, 16, v176
	s_wait_loadcnt 0xc
	;; [unrolled: 2-line block ×8, first 2 shown]
	v_lshrrev_b32_e32 v199, 16, v184
	v_mul_f16_e64 v201, v191, v172
	v_mul_f16_e64 v202, v61, v172
	s_wait_loadcnt 0x4
	v_lshrrev_b32_e32 v200, 16, v185
	v_lshrrev_b32_e32 v63, 16, v57
	v_fma_f16 v201, v61, v180, -v201
	v_fmac_f16_e64 v202, v191, v180
	s_wait_loadcnt 0x0
	v_lshrrev_b32_e32 v191, 16, v189
	v_mul_f16_e64 v168, v62, v63
	v_mul_f16_e32 v63, v60, v63
	s_delay_alu instid0(VALU_DEP_2) | instskip(NEXT) | instid1(VALU_DEP_2)
	v_fma_f16 v60, v60, v57, -v168
	v_fmac_f16_e32 v63, v62, v57
	v_lshrrev_b32_e32 v57, 16, v178
	s_delay_alu instid0(VALU_DEP_2)
	v_pack_b32_f16 v60, v60, v63
	ds_store_b32 v64, v60
	v_lshrrev_b32_e32 v60, 16, v186
	ds_load_2addr_b32 v[62:63], v56 offset0:58 offset1:208
	ds_load_2addr_b32 v[170:171], v59 offset0:26 offset1:176
	ds_load_2addr_b32 v[172:173], v167 offset0:64 offset1:189
	ds_load_2addr_b32 v[174:175], v155 offset0:13 offset1:138
	v_mul_f16_e64 v203, v192, v60
	v_mul_f16_e64 v204, v190, v60
	ds_load_2addr_b32 v[60:61], v166 offset0:45 offset1:170
	ds_load_2addr_b32 v[168:169], v58 offset0:32 offset1:157
	v_fma_f16 v180, v190, v186, -v203
	v_fmac_f16_e64 v204, v192, v186
	v_pack_b32_f16 v192, v201, v202
	v_lshrrev_b32_e32 v186, 16, v187
	v_lshrrev_b32_e32 v190, 16, v188
	s_delay_alu instid0(VALU_DEP_4)
	v_pack_b32_f16 v180, v180, v204
	s_wait_dscnt 0x5
	v_lshrrev_b32_e32 v201, 16, v63
	s_wait_dscnt 0x4
	v_lshrrev_b32_e32 v205, 16, v171
	;; [unrolled: 2-line block ×4, first 2 shown]
	v_lshrrev_b32_e32 v217, 16, v62
	v_lshrrev_b32_e32 v219, 16, v175
	s_wait_dscnt 0x1
	v_lshrrev_b32_e32 v213, 16, v60
	s_wait_dscnt 0x0
	v_lshrrev_b32_e32 v203, 16, v168
	v_lshrrev_b32_e32 v211, 16, v169
	;; [unrolled: 1-line block ×3, first 2 shown]
	v_mul_f16_e64 v202, v63, v193
	v_mul_f16_e64 v206, v171, v57
	v_mul_f16_e64 v208, v172, v195
	v_mul_f16_e64 v210, v174, v196
	v_lshrrev_b32_e32 v215, 16, v173
	v_lshrrev_b32_e32 v223, 16, v61
	v_mul_f16_e64 v193, v201, v193
	v_mul_f16_e64 v57, v205, v57
	;; [unrolled: 1-line block ×18, first 2 shown]
	v_fmac_f16_e64 v202, v201, v176
	v_fmac_f16_e64 v210, v209, v181
	v_mul_f16_e64 v199, v215, v199
	v_mul_f16_e64 v191, v223, v191
	v_fma_f16 v63, v63, v176, -v193
	v_fma_f16 v57, v171, v178, -v57
	v_fma_f16 v171, v172, v179, -v195
	v_fma_f16 v172, v174, v181, -v196
	v_fmac_f16_e64 v206, v205, v178
	v_fmac_f16_e64 v214, v213, v183
	v_fma_f16 v60, v60, v183, -v198
	v_fmac_f16_e64 v218, v217, v185
	v_fma_f16 v62, v62, v185, -v200
	v_fmac_f16_e64 v204, v203, v177
	v_fmac_f16_e64 v220, v219, v187
	v_fma_f16 v168, v168, v177, -v194
	v_fma_f16 v174, v175, v187, -v186
	v_fmac_f16_e64 v212, v211, v182
	v_fmac_f16_e64 v222, v221, v188
	v_fma_f16 v169, v169, v182, -v197
	v_fma_f16 v170, v170, v188, -v190
	v_fmac_f16_e64 v208, v207, v179
	v_fmac_f16_e64 v216, v215, v184
	;; [unrolled: 1-line block ×3, first 2 shown]
	v_fma_f16 v173, v173, v184, -v199
	v_fma_f16 v61, v61, v189, -v191
	v_pack_b32_f16 v63, v63, v202
	v_pack_b32_f16 v172, v172, v210
	;; [unrolled: 1-line block ×12, first 2 shown]
	ds_store_2addr_b32 v51, v63, v172 offset0:16 offset1:141
	ds_store_2addr_b32 v55, v57, v60 offset0:48 offset1:173
	;; [unrolled: 1-line block ×7, first 2 shown]
	s_and_saveexec_b32 s2, vcc_lo
	s_cbranch_execz .LBB0_17
; %bb.16:
	s_wait_alu 0xfffe
	v_add_co_u32 v50, s0, s0, v64
	s_wait_alu 0xf1ff
	v_add_co_ci_u32_e64 v51, null, s1, 0, s0
	s_clause 0x4
	global_load_b32 v52, v[50:51], off offset:1500
	global_load_b32 v53, v[50:51], off offset:3100
	;; [unrolled: 1-line block ×5, first 2 shown]
	ds_load_b32 v51, v64 offset:1500
	ds_load_b32 v57, v64 offset:3100
	;; [unrolled: 1-line block ×5, first 2 shown]
	s_wait_dscnt 0x4
	v_lshrrev_b32_e32 v63, 16, v51
	s_wait_dscnt 0x3
	v_lshrrev_b32_e32 v168, 16, v57
	;; [unrolled: 2-line block ×5, first 2 shown]
	s_wait_loadcnt 0x4
	v_lshrrev_b32_e32 v172, 16, v52
	s_wait_loadcnt 0x3
	v_lshrrev_b32_e32 v173, 16, v53
	;; [unrolled: 2-line block ×5, first 2 shown]
	v_mul_f16_e64 v177, v63, v172
	v_mul_f16_e64 v172, v51, v172
	;; [unrolled: 1-line block ×10, first 2 shown]
	v_fma_f16 v51, v51, v52, -v177
	v_fmac_f16_e64 v172, v63, v52
	v_fma_f16 v52, v57, v53, -v178
	v_fmac_f16_e64 v173, v168, v53
	v_fma_f16 v53, v60, v54, -v179
	v_fmac_f16_e64 v174, v169, v54
	v_fma_f16 v54, v61, v55, -v180
	v_fmac_f16_e64 v175, v170, v55
	v_fma_f16 v55, v62, v50, -v181
	v_fmac_f16_e64 v176, v171, v50
	v_pack_b32_f16 v50, v51, v172
	v_pack_b32_f16 v51, v52, v173
	;; [unrolled: 1-line block ×5, first 2 shown]
	ds_store_b32 v64, v50 offset:1500
	ds_store_b32 v64, v51 offset:3100
	;; [unrolled: 1-line block ×5, first 2 shown]
.LBB0_17:
	s_wait_alu 0xfffe
	s_or_b32 exec_lo, exec_lo, s2
	global_wb scope:SCOPE_SE
	s_wait_dscnt 0x0
	s_barrier_signal -1
	s_barrier_wait -1
	global_inv scope:SCOPE_SE
	ds_load_2addr_b32 v[62:63], v64 offset1:125
	ds_load_2addr_b32 v[56:57], v56 offset0:58 offset1:208
	ds_load_2addr_b32 v[60:61], v58 offset0:32 offset1:157
	;; [unrolled: 1-line block ×6, first 2 shown]
	ds_load_b32 v170, v64 offset:7400
	s_and_saveexec_b32 s0, vcc_lo
	s_cbranch_execz .LBB0_19
; %bb.18:
	ds_load_b32 v164, v64 offset:1500
	ds_load_b32 v163, v64 offset:3100
	;; [unrolled: 1-line block ×5, first 2 shown]
	s_wait_dscnt 0x4
	v_lshrrev_b32_e32 v165, 16, v164
	s_wait_dscnt 0x3
	v_lshrrev_b32_e32 v159, 16, v163
	;; [unrolled: 2-line block ×5, first 2 shown]
.LBB0_19:
	s_wait_alu 0xfffe
	s_or_b32 exec_lo, exec_lo, s0
	v_add_f16_e64 v155, v160, v158
	v_add_f16_e64 v167, v163, v164
	v_sub_f16_e64 v173, v159, v156
	v_sub_f16_e64 v168, v161, v157
	;; [unrolled: 1-line block ×3, first 2 shown]
	v_fma_f16 v166, -0.5, v155, v164
	v_sub_f16_e64 v155, v163, v160
	v_add_f16_e64 v174, v160, v167
	v_add_f16_e64 v175, v163, v162
	v_sub_f16_e64 v176, v160, v163
	v_fma_f16 v167, 0xbb9c, v173, v166
	v_fmac_f16_e64 v166, 0x3b9c, v173
	v_add_f16_e64 v169, v155, v169
	v_fmac_f16_e64 v164, -0.5, v175
	v_add_f16_e64 v175, v161, v157
	v_fmac_f16_e64 v167, 0xb8b4, v168
	v_fmac_f16_e64 v166, 0x38b4, v168
	v_sub_f16_e64 v177, v158, v162
	v_add_f16_e64 v178, v159, v165
	v_sub_f16_e64 v160, v160, v158
	v_fmac_f16_e64 v167, 0x34f2, v169
	v_fmac_f16_e64 v166, 0x34f2, v169
	v_fma_f16 v169, 0x3b9c, v168, v164
	v_fmac_f16_e64 v164, 0xbb9c, v168
	v_fma_f16 v168, -0.5, v175, v165
	v_add_f16_e64 v175, v176, v177
	v_add_f16_e64 v176, v159, v156
	v_fmac_f16_e64 v169, 0xb8b4, v173
	v_fmac_f16_e64 v164, 0x38b4, v173
	v_add_f16_e64 v173, v161, v178
	v_add_f16_e64 v155, v158, v174
	v_fmac_f16_e64 v165, -0.5, v176
	v_sub_f16_e64 v163, v163, v162
	v_fmac_f16_e64 v169, 0x34f2, v175
	v_fmac_f16_e64 v164, 0x34f2, v175
	v_add_f16_e64 v173, v157, v173
	v_sub_f16_e64 v175, v159, v161
	v_sub_f16_e64 v176, v156, v157
	v_fma_f16 v158, 0xbb9c, v160, v165
	v_sub_f16_e64 v159, v161, v159
	v_sub_f16_e64 v157, v157, v156
	v_fmac_f16_e64 v165, 0x3b9c, v160
	v_add_f16_e64 v155, v162, v155
	v_fma_f16 v162, 0x3b9c, v163, v168
	v_fmac_f16_e64 v168, 0xbb9c, v163
	v_fmac_f16_e64 v158, 0x38b4, v163
	v_add_f16_e64 v157, v159, v157
	v_fmac_f16_e64 v165, 0xb8b4, v163
	v_fmac_f16_e64 v162, 0x38b4, v160
	v_add_f16_e64 v161, v175, v176
	v_fmac_f16_e64 v168, 0xb8b4, v160
	v_fmac_f16_e64 v158, 0x34f2, v157
	;; [unrolled: 1-line block ×3, first 2 shown]
	s_wait_dscnt 0x4
	v_pk_add_f16 v157, v60, v53
	s_wait_dscnt 0x3
	v_pk_add_f16 v159, v57, v58 neg_lo:[0,1] neg_hi:[0,1]
	v_fmac_f16_e64 v162, 0x34f2, v161
	v_fmac_f16_e64 v168, 0x34f2, v161
	v_pk_add_f16 v160, v60, v53 neg_lo:[0,1] neg_hi:[0,1]
	v_pk_fma_f16 v157, v157, 0.5, v62 op_sel_hi:[1,0,1] neg_lo:[1,0,0] neg_hi:[1,0,0]
	v_pk_mul_f16 v161, 0x3b9c, v159 op_sel_hi:[0,1]
	v_pk_add_f16 v163, v57, v58
	v_pk_add_f16 v171, v62, v57
	v_add_f16_e64 v156, v156, v173
	v_pk_mul_f16 v173, 0x38b4, v160 op_sel_hi:[0,1]
	v_pk_add_f16 v176, v157, v161 op_sel:[0,1] op_sel_hi:[1,0] neg_lo:[0,1] neg_hi:[0,1]
	v_pk_fma_f16 v62, v163, 0.5, v62 op_sel_hi:[1,0,1] neg_lo:[1,0,0] neg_hi:[1,0,0]
	v_pk_mul_f16 v160, 0x3b9c, v160 op_sel_hi:[0,1]
	v_pk_add_f16 v157, v157, v161 op_sel:[0,1] op_sel_hi:[1,0]
	v_pk_mul_f16 v159, 0x38b4, v159 op_sel_hi:[0,1]
	v_pk_add_f16 v161, v176, v173 op_sel:[0,1] op_sel_hi:[1,0] neg_lo:[0,1] neg_hi:[0,1]
	v_pk_add_f16 v171, v171, v60
	v_pk_add_f16 v176, v62, v160 op_sel:[0,1] op_sel_hi:[1,0]
	v_pk_add_f16 v62, v62, v160 op_sel:[0,1] op_sel_hi:[1,0] neg_lo:[0,1] neg_hi:[0,1]
	v_pk_add_f16 v175, v57, v60 neg_lo:[0,1] neg_hi:[0,1]
	v_pk_add_f16 v57, v60, v57 neg_lo:[0,1] neg_hi:[0,1]
	;; [unrolled: 1-line block ×3, first 2 shown]
	v_pk_add_f16 v160, v176, v159 op_sel:[0,1] op_sel_hi:[1,0] neg_lo:[0,1] neg_hi:[0,1]
	v_pk_add_f16 v62, v62, v159 op_sel:[0,1] op_sel_hi:[1,0]
	v_pk_add_f16 v163, v58, v53 neg_lo:[0,1] neg_hi:[0,1]
	v_pk_add_f16 v157, v157, v173 op_sel:[0,1] op_sel_hi:[1,0]
	v_pk_add_f16 v57, v57, v60
	s_wait_dscnt 0x2
	v_pk_add_f16 v172, v63, v54
	v_bfi_b32 v60, 0xffff, v160, v62
	v_bfi_b32 v62, 0xffff, v62, v160
	v_pk_add_f16 v53, v171, v53
	v_pk_add_f16 v159, v175, v163
	v_bfi_b32 v163, 0xffff, v161, v157
	v_pk_fma_f16 v60, 0x34f2, v57, v60 op_sel_hi:[0,1,1]
	v_pk_fma_f16 v57, 0x34f2, v57, v62 op_sel_hi:[0,1,1]
	v_bfi_b32 v62, 0xffff, v157, v161
	s_wait_dscnt 0x1
	v_pk_add_f16 v157, v61, v50
	v_pk_add_f16 v160, v54, v59 neg_lo:[0,1] neg_hi:[0,1]
	v_pk_add_f16 v53, v53, v58
	v_pk_fma_f16 v58, 0x34f2, v159, v163 op_sel_hi:[0,1,1]
	v_pk_add_f16 v161, v172, v61
	v_pk_add_f16 v163, v61, v50 neg_lo:[0,1] neg_hi:[0,1]
	v_pk_fma_f16 v62, 0x34f2, v159, v62 op_sel_hi:[0,1,1]
	v_pk_fma_f16 v157, v157, 0.5, v63 op_sel_hi:[1,0,1] neg_lo:[1,0,0] neg_hi:[1,0,0]
	v_pk_mul_f16 v159, 0x3b9c, v160 op_sel_hi:[0,1]
	v_pk_add_f16 v172, v54, v59
	v_pk_mul_f16 v171, 0x38b4, v163 op_sel_hi:[0,1]
	v_pk_mul_f16 v163, 0x3b9c, v163 op_sel_hi:[0,1]
	;; [unrolled: 1-line block ×3, first 2 shown]
	v_pk_add_f16 v175, v157, v159 op_sel:[0,1] op_sel_hi:[1,0] neg_lo:[0,1] neg_hi:[0,1]
	v_pk_add_f16 v157, v157, v159 op_sel:[0,1] op_sel_hi:[1,0]
	v_pk_fma_f16 v63, v172, 0.5, v63 op_sel_hi:[1,0,1] neg_lo:[1,0,0] neg_hi:[1,0,0]
	v_pk_add_f16 v161, v161, v50
	v_pk_add_f16 v173, v54, v61 neg_lo:[0,1] neg_hi:[0,1]
	v_pk_add_f16 v172, v175, v171 op_sel:[0,1] op_sel_hi:[1,0] neg_lo:[0,1] neg_hi:[0,1]
	v_pk_add_f16 v157, v157, v171 op_sel:[0,1] op_sel_hi:[1,0]
	v_pk_add_f16 v171, v63, v163 op_sel:[0,1] op_sel_hi:[1,0]
	v_pk_add_f16 v63, v63, v163 op_sel:[0,1] op_sel_hi:[1,0] neg_lo:[0,1] neg_hi:[0,1]
	v_pk_add_f16 v159, v59, v50 neg_lo:[0,1] neg_hi:[0,1]
	v_pk_add_f16 v54, v61, v54 neg_lo:[0,1] neg_hi:[0,1]
	;; [unrolled: 1-line block ×3, first 2 shown]
	v_pk_add_f16 v61, v171, v160 op_sel:[0,1] op_sel_hi:[1,0] neg_lo:[0,1] neg_hi:[0,1]
	v_pk_add_f16 v63, v63, v160 op_sel:[0,1] op_sel_hi:[1,0]
	global_wb scope:SCOPE_SE
	s_wait_dscnt 0x0
	s_barrier_signal -1
	s_barrier_wait -1
	global_inv scope:SCOPE_SE
	v_pk_add_f16 v159, v173, v159
	ds_store_2addr_b32 v96, v53, v58 offset1:1
	ds_store_2addr_b32 v96, v60, v57 offset0:2 offset1:3
	ds_store_b32 v96, v62 offset:16
	v_pk_add_f16 v50, v54, v50
	v_bfi_b32 v53, 0xffff, v61, v63
	v_pk_add_f16 v54, v161, v59
	v_bfi_b32 v58, 0xffff, v63, v61
	v_bfi_b32 v59, 0xffff, v157, v172
	v_pk_add_f16 v60, v52, v51
	v_pk_add_f16 v61, v55, v170 neg_lo:[0,1] neg_hi:[0,1]
	v_pk_fma_f16 v53, 0x34f2, v50, v53 op_sel_hi:[0,1,1]
	v_pk_fma_f16 v50, 0x34f2, v50, v58 op_sel_hi:[0,1,1]
	;; [unrolled: 1-line block ×3, first 2 shown]
	v_pk_add_f16 v59, v52, v51 neg_lo:[0,1] neg_hi:[0,1]
	v_pk_fma_f16 v60, v60, 0.5, v56 op_sel_hi:[1,0,1] neg_lo:[1,0,0] neg_hi:[1,0,0]
	v_pk_mul_f16 v62, 0x3b9c, v61 op_sel_hi:[0,1]
	v_pk_add_f16 v63, v55, v170
	v_pk_add_f16 v174, v56, v55
	v_bfi_b32 v163, 0xffff, v172, v157
	v_pk_mul_f16 v157, 0x38b4, v59 op_sel_hi:[0,1]
	v_pk_add_f16 v160, v60, v62 op_sel:[0,1] op_sel_hi:[1,0] neg_lo:[0,1] neg_hi:[0,1]
	v_pk_fma_f16 v56, v63, 0.5, v56 op_sel_hi:[1,0,1] neg_lo:[1,0,0] neg_hi:[1,0,0]
	v_pk_mul_f16 v59, 0x3b9c, v59 op_sel_hi:[0,1]
	v_pk_add_f16 v60, v60, v62 op_sel:[0,1] op_sel_hi:[1,0]
	v_pk_mul_f16 v61, 0x38b4, v61 op_sel_hi:[0,1]
	v_pk_add_f16 v62, v160, v157 op_sel:[0,1] op_sel_hi:[1,0] neg_lo:[0,1] neg_hi:[0,1]
	v_pk_fma_f16 v57, 0x34f2, v159, v163 op_sel_hi:[0,1,1]
	v_pk_add_f16 v160, v56, v59 op_sel:[0,1] op_sel_hi:[1,0]
	v_pk_add_f16 v56, v56, v59 op_sel:[0,1] op_sel_hi:[1,0] neg_lo:[0,1] neg_hi:[0,1]
	v_pk_add_f16 v96, v174, v52
	v_pk_add_f16 v159, v55, v52 neg_lo:[0,1] neg_hi:[0,1]
	v_pk_add_f16 v63, v170, v51 neg_lo:[0,1] neg_hi:[0,1]
	v_pk_add_f16 v59, v60, v157 op_sel:[0,1] op_sel_hi:[1,0]
	v_pk_add_f16 v52, v52, v55 neg_lo:[0,1] neg_hi:[0,1]
	v_pk_add_f16 v55, v51, v170 neg_lo:[0,1] neg_hi:[0,1]
	v_pk_add_f16 v60, v160, v61 op_sel:[0,1] op_sel_hi:[1,0] neg_lo:[0,1] neg_hi:[0,1]
	v_pk_add_f16 v56, v56, v61 op_sel:[0,1] op_sel_hi:[1,0]
	v_pk_add_f16 v51, v96, v51
	v_pk_add_f16 v61, v159, v63
	v_bfi_b32 v63, 0xffff, v62, v59
	v_pk_add_f16 v52, v52, v55
	v_bfi_b32 v55, 0xffff, v60, v56
	v_bfi_b32 v56, 0xffff, v56, v60
	;; [unrolled: 1-line block ×3, first 2 shown]
	v_pk_add_f16 v51, v51, v170
	v_pk_fma_f16 v60, 0x34f2, v61, v63 op_sel_hi:[0,1,1]
	v_pk_fma_f16 v55, 0x34f2, v52, v55 op_sel_hi:[0,1,1]
	;; [unrolled: 1-line block ×4, first 2 shown]
	ds_store_2addr_b32 v97, v54, v57 offset1:1
	ds_store_2addr_b32 v97, v53, v50 offset0:2 offset1:3
	ds_store_b32 v97, v58 offset:16
	ds_store_2addr_b32 v98, v51, v60 offset1:1
	ds_store_2addr_b32 v98, v55, v52 offset0:2 offset1:3
	ds_store_b32 v98, v56 offset:16
	s_and_saveexec_b32 s0, vcc_lo
	s_cbranch_execz .LBB0_21
; %bb.20:
	v_lshlrev_b32_e32 v50, 2, v99
	v_perm_b32 v51, v162, v167, 0x5040100
	v_perm_b32 v52, v156, v155, 0x5040100
	;; [unrolled: 1-line block ×5, first 2 shown]
	ds_store_2addr_b32 v50, v52, v51 offset1:1
	ds_store_2addr_b32 v50, v54, v53 offset0:2 offset1:3
	ds_store_b32 v50, v55 offset:16
.LBB0_21:
	s_wait_alu 0xfffe
	s_or_b32 exec_lo, exec_lo, s0
	v_add_nc_u32_e32 v54, 0xc00, v64
	v_add_nc_u32_e32 v50, 0x300, v64
	;; [unrolled: 1-line block ×6, first 2 shown]
	global_wb scope:SCOPE_SE
	s_wait_dscnt 0x0
	s_barrier_signal -1
	s_barrier_wait -1
	global_inv scope:SCOPE_SE
	ds_load_2addr_b32 v[52:53], v64 offset1:125
	ds_load_2addr_b32 v[50:51], v50 offset0:58 offset1:208
	ds_load_2addr_b32 v[62:63], v54 offset0:32 offset1:157
	;; [unrolled: 1-line block ×6, first 2 shown]
	ds_load_b32 v99, v64 offset:7400
	s_and_saveexec_b32 s0, vcc_lo
	s_cbranch_execz .LBB0_23
; %bb.22:
	ds_load_b32 v155, v64 offset:1500
	ds_load_b32 v167, v64 offset:3100
	;; [unrolled: 1-line block ×5, first 2 shown]
	s_wait_dscnt 0x4
	v_lshrrev_b32_e32 v156, 16, v155
	s_wait_dscnt 0x3
	v_lshrrev_b32_e32 v162, 16, v167
	;; [unrolled: 2-line block ×5, first 2 shown]
.LBB0_23:
	s_wait_alu 0xfffe
	s_or_b32 exec_lo, exec_lo, s0
	s_wait_dscnt 0x6
	v_lshrrev_b32_e32 v157, 16, v51
	s_wait_dscnt 0x5
	v_lshrrev_b32_e32 v159, 16, v62
	s_wait_dscnt 0x4
	v_lshrrev_b32_e32 v160, 16, v55
	s_wait_dscnt 0x3
	v_lshrrev_b32_e32 v161, 16, v60
	s_wait_dscnt 0x2
	v_lshrrev_b32_e32 v163, 16, v58
	v_mul_f16_e64 v175, v131, v157
	v_mul_f16_e64 v176, v129, v159
	;; [unrolled: 1-line block ×3, first 2 shown]
	v_lshrrev_b32_e32 v170, 16, v63
	s_wait_dscnt 0x1
	v_lshrrev_b32_e32 v171, 16, v56
	v_fmac_f16_e64 v175, v12, v51
	v_fmac_f16_e64 v176, v13, v62
	v_mul_f16_e64 v51, v129, v62
	v_mul_f16_e64 v62, v127, v160
	v_mul_f16_e32 v127, v127, v55
	v_mul_f16_e64 v129, v126, v161
	v_lshrrev_b32_e32 v172, 16, v61
	v_fma_f16 v13, v13, v159, -v51
	v_fmac_f16_e32 v62, v14, v55
	v_mul_f16_e64 v51, v123, v163
	v_mul_f16_e32 v55, v123, v58
	v_lshrrev_b32_e32 v173, 16, v59
	v_lshrrev_b32_e32 v174, 16, v54
	v_mul_f16_e32 v126, v126, v60
	v_fmac_f16_e64 v129, v15, v60
	v_mul_f16_e64 v60, v121, v170
	v_mul_f16_e64 v123, v119, v171
	v_fmac_f16_e32 v51, v8, v58
	v_fma_f16 v8, v8, v163, -v55
	v_mul_f16_e32 v55, v119, v56
	v_lshrrev_b32_e32 v177, 16, v57
	s_wait_dscnt 0x0
	v_lshrrev_b32_e32 v178, 16, v99
	v_mul_f16_e32 v121, v121, v63
	v_fmac_f16_e32 v60, v9, v63
	v_fmac_f16_e32 v123, v10, v56
	v_mul_f16_e64 v56, v117, v172
	v_mul_f16_e32 v58, v117, v61
	v_mul_f16_e64 v63, v122, v173
	v_mul_f16_e32 v117, v122, v59
	v_fma_f16 v10, v10, v171, -v55
	v_mul_f16_e64 v55, v120, v174
	v_fmac_f16_e32 v56, v11, v61
	v_fma_f16 v11, v11, v172, -v58
	v_fmac_f16_e32 v63, v4, v59
	v_fma_f16 v4, v4, v173, -v117
	v_mul_f16_e32 v58, v120, v54
	v_mul_f16_e64 v59, v118, v177
	v_mul_f16_e32 v61, v118, v57
	v_mul_f16_e64 v117, v116, v178
	v_fmac_f16_e32 v55, v5, v54
	v_mul_f16_e32 v54, v116, v99
	v_fma_f16 v12, v12, v157, -v131
	v_fma_f16 v15, v15, v161, -v126
	;; [unrolled: 1-line block ×3, first 2 shown]
	v_fmac_f16_e32 v59, v6, v57
	v_fma_f16 v6, v6, v177, -v61
	v_fmac_f16_e32 v117, v7, v99
	v_mul_f16_e64 v57, v115, v162
	v_mul_f16_e64 v58, v115, v167
	;; [unrolled: 1-line block ×4, first 2 shown]
	v_fma_f16 v7, v7, v178, -v54
	v_add_f16_e64 v54, v176, v62
	v_fma_f16 v14, v14, v160, -v127
	v_fmac_f16_e64 v57, v0, v167
	v_fma_f16 v0, v0, v162, -v58
	v_fmac_f16_e64 v61, v1, v169
	v_fma_f16 v1, v1, v158, -v99
	v_mul_f16_e64 v58, v113, v165
	v_mul_f16_e64 v99, v113, v164
	v_add_f16_e64 v114, v52, v175
	v_fma_f16 v115, -0.5, v54, v52
	v_sub_f16_e32 v54, v12, v15
	v_lshrrev_b32_e32 v98, 16, v52
	v_fmac_f16_e64 v58, v2, v164
	v_fma_f16 v2, v2, v165, -v99
	v_add_f16_e64 v99, v114, v176
	v_fmamk_f16 v114, v54, 0xbb9c, v115
	v_sub_f16_e32 v116, v13, v14
	v_sub_f16_e64 v118, v175, v176
	v_sub_f16_e64 v119, v129, v62
	v_add_f16_e64 v120, v175, v129
	v_fmac_f16_e32 v115, 0x3b9c, v54
	v_fma_f16 v9, v9, v170, -v121
	v_mul_f16_e64 v113, v112, v168
	v_mul_f16_e64 v112, v112, v166
	v_fmac_f16_e32 v114, 0xb8b4, v116
	v_add_f16_e32 v118, v118, v119
	v_fma_f16 v119, -0.5, v120, v52
	v_sub_f16_e64 v52, v176, v175
	v_sub_f16_e64 v120, v62, v129
	v_fmac_f16_e32 v115, 0x38b4, v116
	v_add_f16_e32 v121, v98, v12
	v_add_f16_e32 v122, v13, v14
	v_fmac_f16_e64 v113, v3, v166
	v_fma_f16 v3, v3, v168, -v112
	v_fmac_f16_e32 v114, 0x34f2, v118
	v_fmamk_f16 v112, v116, 0x3b9c, v119
	v_add_f16_e32 v52, v52, v120
	v_fmac_f16_e32 v119, 0xbb9c, v116
	v_add_f16_e32 v116, v121, v13
	v_fma_f16 v120, -0.5, v122, v98
	v_sub_f16_e64 v121, v175, v129
	v_fmac_f16_e32 v115, 0x34f2, v118
	v_add_f16_e32 v118, v12, v15
	v_sub_f16_e32 v122, v12, v13
	v_sub_f16_e32 v12, v13, v12
	;; [unrolled: 1-line block ×3, first 2 shown]
	v_add_f16_e32 v99, v99, v62
	v_fmac_f16_e32 v112, 0xb8b4, v54
	v_fmac_f16_e32 v119, 0x38b4, v54
	v_add_f16_e32 v54, v116, v14
	v_fmamk_f16 v116, v121, 0x3b9c, v120
	v_sub_f16_e64 v62, v176, v62
	v_sub_f16_e32 v126, v15, v14
	v_fmac_f16_e32 v98, -0.5, v118
	v_fmac_f16_e32 v120, 0xbb9c, v121
	v_add_f16_e32 v14, v60, v123
	v_add_f16_e32 v12, v12, v13
	;; [unrolled: 1-line block ×3, first 2 shown]
	v_lshrrev_b32_e32 v97, 16, v53
	v_fmac_f16_e32 v112, 0x34f2, v52
	v_fmac_f16_e32 v119, 0x34f2, v52
	;; [unrolled: 1-line block ×3, first 2 shown]
	v_add_f16_e32 v52, v122, v126
	v_fmamk_f16 v122, v62, 0xbb9c, v98
	v_fmac_f16_e32 v120, 0xb8b4, v62
	v_fma_f16 v126, -0.5, v14, v53
	v_sub_f16_e32 v14, v8, v11
	v_fmac_f16_e32 v98, 0x3b9c, v62
	v_add_f16_e32 v13, v13, v60
	v_add_f16_e32 v127, v51, v56
	v_add_f16_e32 v118, v54, v15
	v_fmac_f16_e32 v116, 0x34f2, v52
	v_fmac_f16_e32 v122, 0x38b4, v121
	v_fmac_f16_e32 v120, 0x34f2, v52
	v_fmamk_f16 v62, v14, 0xbb9c, v126
	v_sub_f16_e32 v15, v9, v10
	v_sub_f16_e32 v52, v51, v60
	;; [unrolled: 1-line block ×3, first 2 shown]
	v_fmac_f16_e32 v98, 0xb8b4, v121
	v_add_f16_e32 v13, v13, v123
	v_fmac_f16_e32 v53, -0.5, v127
	v_fmac_f16_e32 v126, 0x3b9c, v14
	v_add_f16_e32 v127, v97, v8
	v_add_f16_e64 v99, v99, v129
	v_fmac_f16_e32 v122, 0x34f2, v12
	v_fmac_f16_e32 v62, 0xb8b4, v15
	v_add_f16_e32 v52, v52, v54
	v_fmac_f16_e32 v98, 0x34f2, v12
	v_add_f16_e32 v12, v13, v56
	v_fmamk_f16 v13, v15, 0x3b9c, v53
	v_sub_f16_e32 v54, v60, v51
	v_sub_f16_e32 v121, v123, v56
	v_fmac_f16_e32 v126, 0x38b4, v15
	v_add_f16_e64 v129, v9, v10
	v_fmac_f16_e32 v53, 0xbb9c, v15
	v_add_f16_e32 v15, v127, v9
	v_fmac_f16_e32 v13, 0xb8b4, v14
	v_add_f16_e32 v54, v54, v121
	v_fma_f16 v121, -0.5, v129, v97
	v_sub_f16_e32 v51, v51, v56
	v_fmac_f16_e32 v53, 0x38b4, v14
	v_add_f16_e32 v14, v15, v10
	v_add_f16_e32 v15, v8, v11
	v_sub_f16_e32 v56, v8, v9
	v_sub_f16_e32 v8, v9, v8
	;; [unrolled: 1-line block ×3, first 2 shown]
	v_fmac_f16_e32 v62, 0x34f2, v52
	v_fmac_f16_e32 v126, 0x34f2, v52
	v_fmamk_f16 v127, v51, 0x3b9c, v121
	v_sub_f16_e32 v52, v60, v123
	v_sub_f16_e32 v60, v11, v10
	v_fmac_f16_e32 v97, -0.5, v15
	v_fmac_f16_e32 v121, 0xbb9c, v51
	v_add_f16_e32 v10, v55, v59
	v_add_f16_e32 v8, v8, v9
	;; [unrolled: 1-line block ×3, first 2 shown]
	v_lshrrev_b32_e32 v96, 16, v50
	v_fmac_f16_e32 v13, 0x34f2, v54
	v_fmac_f16_e32 v53, 0x34f2, v54
	v_add_f16_e32 v123, v14, v11
	v_fmac_f16_e32 v127, 0x38b4, v52
	v_add_f16_e32 v14, v56, v60
	v_fmamk_f16 v60, v52, 0xbb9c, v97
	v_fmac_f16_e32 v121, 0xb8b4, v52
	v_fma_f16 v10, -0.5, v10, v50
	v_sub_f16_e32 v11, v4, v7
	v_fmac_f16_e32 v97, 0x3b9c, v52
	v_add_f16_e32 v9, v9, v55
	v_add_f16_e32 v54, v63, v117
	v_fmac_f16_e32 v127, 0x34f2, v14
	v_fmac_f16_e32 v60, 0x38b4, v51
	;; [unrolled: 1-line block ×3, first 2 shown]
	v_fma_f16 v129, 0xbb9c, v11, v10
	v_sub_f16_e32 v14, v5, v6
	v_sub_f16_e32 v15, v63, v55
	;; [unrolled: 1-line block ×3, first 2 shown]
	v_fmac_f16_e32 v97, 0xb8b4, v51
	v_add_f16_e32 v9, v9, v59
	v_fmac_f16_e32 v50, -0.5, v54
	v_fmac_f16_e32 v10, 0x3b9c, v11
	v_add_f16_e32 v54, v96, v4
	v_fmac_f16_e32 v60, 0x34f2, v8
	v_fmac_f16_e64 v129, 0xb8b4, v14
	v_add_f16_e32 v15, v15, v52
	v_fmac_f16_e32 v97, 0x34f2, v8
	v_add_f16_e32 v8, v9, v117
	v_fmamk_f16 v9, v14, 0x3b9c, v50
	v_sub_f16_e32 v51, v55, v63
	v_sub_f16_e32 v52, v59, v117
	v_fmac_f16_e32 v10, 0x38b4, v14
	v_add_f16_e32 v56, v5, v6
	v_fmac_f16_e32 v50, 0xbb9c, v14
	v_add_f16_e32 v14, v54, v5
	;; [unrolled: 2-line block ×3, first 2 shown]
	v_fma_f16 v131, -0.5, v56, v96
	v_sub_f16_e32 v52, v63, v117
	v_fmac_f16_e32 v50, 0x38b4, v11
	v_add_f16_e32 v11, v14, v6
	v_add_f16_e32 v14, v4, v7
	v_fmac_f16_e64 v129, 0x34f2, v15
	v_fmac_f16_e32 v10, 0x34f2, v15
	v_fma_f16 v63, 0x3b9c, v52, v131
	v_sub_f16_e32 v15, v55, v59
	v_sub_f16_e32 v54, v4, v5
	;; [unrolled: 1-line block ×3, first 2 shown]
	v_fmac_f16_e32 v96, -0.5, v14
	v_fmac_f16_e64 v131, 0xbb9c, v52
	v_sub_f16_e32 v4, v5, v4
	v_sub_f16_e32 v5, v6, v7
	v_add_f16_e32 v6, v61, v58
	v_fmac_f16_e32 v9, 0x34f2, v51
	v_fmac_f16_e32 v50, 0x34f2, v51
	;; [unrolled: 1-line block ×3, first 2 shown]
	v_add_f16_e32 v14, v54, v55
	v_fmamk_f16 v59, v15, 0xbb9c, v96
	v_fmac_f16_e64 v131, 0xb8b4, v15
	v_add_f16_e32 v4, v4, v5
	v_fmac_f16_e32 v96, 0x3b9c, v15
	v_add_f16_e64 v5, v57, v155
	v_fma_f16 v51, -0.5, v6, v155
	v_sub_f16_e32 v6, v0, v3
	v_add_f16_e32 v54, v57, v113
	v_add_f16_e32 v11, v11, v7
	v_fmac_f16_e32 v63, 0x34f2, v14
	v_fmac_f16_e32 v59, 0x38b4, v52
	v_fmac_f16_e64 v131, 0x34f2, v14
	v_fmac_f16_e32 v96, 0xb8b4, v52
	v_add_f16_e32 v5, v61, v5
	v_fmamk_f16 v52, v6, 0xbb9c, v51
	v_sub_f16_e32 v7, v1, v2
	v_sub_f16_e32 v14, v57, v61
	;; [unrolled: 1-line block ×3, first 2 shown]
	v_fmac_f16_e32 v51, 0x3b9c, v6
	v_fmac_f16_e64 v155, -0.5, v54
	v_add_f16_e32 v5, v58, v5
	v_fmac_f16_e32 v52, 0xb8b4, v7
	v_add_f16_e32 v15, v14, v15
	v_fmac_f16_e32 v51, 0x38b4, v7
	v_fma_f16 v54, 0x3b9c, v7, v155
	v_fmac_f16_e64 v155, 0xbb9c, v7
	v_add_f16_e64 v7, v0, v156
	v_fmac_f16_e32 v59, 0x34f2, v4
	v_fmac_f16_e32 v96, 0x34f2, v4
	v_add_f16_e32 v14, v113, v5
	v_fmac_f16_e32 v52, 0x34f2, v15
	v_fmac_f16_e32 v51, 0x34f2, v15
	v_add_f16_e32 v4, v1, v2
	v_sub_f16_e32 v5, v61, v57
	v_sub_f16_e32 v15, v58, v113
	v_fmac_f16_e32 v54, 0xb8b4, v6
	v_fmac_f16_e64 v155, 0x38b4, v6
	v_add_f16_e32 v6, v1, v7
	v_add_f16_e32 v7, v0, v3
	v_fma_f16 v55, -0.5, v4, v156
	v_add_f16_e32 v5, v5, v15
	v_sub_f16_e32 v15, v61, v58
	v_sub_f16_e32 v4, v57, v113
	v_fmac_f16_e64 v156, -0.5, v7
	v_sub_f16_e32 v7, v3, v2
	v_fmac_f16_e32 v54, 0x34f2, v5
	v_fmac_f16_e64 v155, 0x34f2, v5
	v_add_f16_e32 v5, v2, v6
	v_sub_f16_e32 v6, v0, v1
	v_fma_f16 v57, 0xbb9c, v15, v156
	v_sub_f16_e32 v0, v1, v0
	v_sub_f16_e32 v1, v2, v3
	v_fmac_f16_e64 v156, 0x3b9c, v15
	v_fmamk_f16 v56, v4, 0x3b9c, v55
	v_fmac_f16_e32 v55, 0xbb9c, v4
	v_fmac_f16_e32 v57, 0x38b4, v4
	v_add_f16_e32 v0, v0, v1
	v_fmac_f16_e64 v156, 0xb8b4, v4
	v_fmac_f16_e32 v56, 0x38b4, v15
	v_add_f16_e32 v2, v6, v7
	v_fmac_f16_e32 v55, 0xb8b4, v15
	v_fmac_f16_e32 v57, 0x34f2, v0
	v_fmac_f16_e64 v156, 0x34f2, v0
	v_pack_b32_f16 v0, v99, v118
	v_pack_b32_f16 v1, v114, v116
	v_add_f16_e32 v15, v3, v5
	v_fmac_f16_e32 v56, 0x34f2, v2
	v_fmac_f16_e32 v55, 0x34f2, v2
	v_pack_b32_f16 v2, v112, v122
	v_pack_b32_f16 v3, v119, v98
	v_pack_b32_f16 v4, v115, v120
	v_pack_b32_f16 v5, v12, v123
	v_pack_b32_f16 v6, v62, v127
	global_wb scope:SCOPE_SE
	s_barrier_signal -1
	s_barrier_wait -1
	global_inv scope:SCOPE_SE
	ds_store_2addr_b32 v103, v0, v1 offset1:5
	ds_store_2addr_b32 v103, v2, v3 offset0:10 offset1:15
	ds_store_b32 v103, v4 offset:80
	ds_store_2addr_b32 v102, v5, v6 offset1:5
	v_pack_b32_f16 v0, v13, v60
	v_pack_b32_f16 v1, v53, v97
	;; [unrolled: 1-line block ×8, first 2 shown]
	ds_store_2addr_b32 v102, v0, v1 offset0:10 offset1:15
	ds_store_b32 v102, v2 offset:80
	ds_store_2addr_b32 v101, v3, v4 offset1:5
	ds_store_2addr_b32 v101, v5, v6 offset0:10 offset1:15
	ds_store_b32 v101, v7 offset:80
	s_and_saveexec_b32 s0, vcc_lo
	s_cbranch_execz .LBB0_25
; %bb.24:
	v_and_b32_e32 v0, 0xffff, v100
	v_perm_b32 v1, v15, v14, 0x5040100
	v_perm_b32 v2, v56, v52, 0x5040100
	;; [unrolled: 1-line block ×4, first 2 shown]
	v_lshlrev_b32_e32 v0, 2, v0
	v_perm_b32 v5, v55, v51, 0x5040100
	ds_store_2addr_b32 v0, v1, v2 offset1:5
	ds_store_2addr_b32 v0, v3, v4 offset0:10 offset1:15
	ds_store_b32 v0, v5 offset:80
.LBB0_25:
	s_wait_alu 0xfffe
	s_or_b32 exec_lo, exec_lo, s0
	v_add_nc_u32_e32 v4, 0xc00, v64
	v_add_nc_u32_e32 v0, 0x300, v64
	v_add_nc_u32_e32 v5, 0x1000, v64
	v_add_nc_u32_e32 v8, 0x1800, v64
	v_add_nc_u32_e32 v9, 0x800, v64
	v_add_nc_u32_e32 v50, 0x1400, v64
	global_wb scope:SCOPE_SE
	s_wait_dscnt 0x0
	s_barrier_signal -1
	s_barrier_wait -1
	global_inv scope:SCOPE_SE
	ds_load_2addr_b32 v[2:3], v64 offset1:125
	ds_load_2addr_b32 v[0:1], v0 offset0:58 offset1:208
	ds_load_2addr_b32 v[12:13], v4 offset0:32 offset1:157
	;; [unrolled: 1-line block ×6, first 2 shown]
	ds_load_b32 v50, v64 offset:7400
	s_and_saveexec_b32 s0, vcc_lo
	s_cbranch_execz .LBB0_27
; %bb.26:
	ds_load_b32 v14, v64 offset:1500
	ds_load_b32 v52, v64 offset:3100
	;; [unrolled: 1-line block ×5, first 2 shown]
	s_wait_dscnt 0x4
	v_lshrrev_b32_e32 v15, 16, v14
	s_wait_dscnt 0x3
	v_lshrrev_b32_e32 v56, 16, v52
	;; [unrolled: 2-line block ×5, first 2 shown]
.LBB0_27:
	s_wait_alu 0xfffe
	s_or_b32 exec_lo, exec_lo, s0
	s_wait_dscnt 0x6
	v_lshrrev_b32_e32 v58, 16, v1
	s_wait_dscnt 0x5
	v_lshrrev_b32_e32 v59, 16, v12
	;; [unrolled: 2-line block ×5, first 2 shown]
	v_mul_f16_e64 v112, v151, v58
	v_mul_f16_e64 v113, v151, v1
	;; [unrolled: 1-line block ×5, first 2 shown]
	v_lshrrev_b32_e32 v96, 16, v13
	s_wait_dscnt 0x1
	v_lshrrev_b32_e32 v97, 16, v4
	v_fmac_f16_e32 v112, v24, v1
	v_fma_f16 v1, v24, v58, -v113
	v_fmac_f16_e32 v114, v25, v12
	v_fma_f16 v12, v25, v59, -v115
	v_fmac_f16_e32 v116, v26, v7
	v_mul_f16_e64 v7, v148, v7
	v_mul_f16_e64 v24, v147, v61
	;; [unrolled: 1-line block ×5, first 2 shown]
	v_lshrrev_b32_e32 v98, 16, v11
	v_lshrrev_b32_e32 v100, 16, v9
	v_fma_f16 v7, v26, v60, -v7
	v_fmac_f16_e32 v24, v27, v10
	v_fma_f16 v10, v27, v61, -v25
	v_fmac_f16_e32 v58, v20, v8
	v_fma_f16 v8, v20, v63, -v59
	v_mul_f16_e64 v20, v145, v96
	v_mul_f16_e64 v25, v145, v13
	;; [unrolled: 1-line block ×4, first 2 shown]
	v_lshrrev_b32_e32 v101, 16, v6
	v_mul_f16_e64 v59, v143, v98
	v_fmac_f16_e32 v20, v21, v13
	v_fma_f16 v13, v21, v96, -v25
	v_fmac_f16_e32 v26, v22, v4
	v_fma_f16 v4, v22, v97, -v27
	v_mul_f16_e64 v21, v154, v100
	v_mul_f16_e64 v22, v154, v9
	v_lshrrev_b32_e32 v102, 16, v5
	s_wait_dscnt 0x0
	v_lshrrev_b32_e32 v103, 16, v50
	v_fmac_f16_e32 v59, v23, v11
	v_mul_f16_e64 v11, v143, v11
	v_mul_f16_e64 v25, v153, v101
	;; [unrolled: 1-line block ×3, first 2 shown]
	v_fmac_f16_e32 v21, v28, v9
	v_fma_f16 v9, v28, v100, -v22
	v_add_f16_e32 v22, v114, v116
	v_lshrrev_b32_e32 v53, 16, v2
	v_fma_f16 v11, v23, v98, -v11
	v_fmac_f16_e32 v25, v29, v6
	v_fma_f16 v6, v29, v101, -v27
	v_mul_f16_e64 v23, v152, v102
	v_mul_f16_e64 v27, v152, v5
	v_mul_f16_e64 v28, v149, v103
	v_add_f16_e32 v29, v2, v112
	v_fma_f16 v22, -0.5, v22, v2
	v_sub_f16_e32 v60, v1, v10
	v_add_f16_e32 v96, v112, v24
	v_fmac_f16_e32 v23, v30, v5
	v_fma_f16 v5, v30, v102, -v27
	v_fmac_f16_e32 v28, v31, v50
	v_add_f16_e32 v27, v29, v114
	v_fmamk_f16 v29, v60, 0xbb9c, v22
	v_sub_f16_e32 v30, v12, v7
	v_sub_f16_e32 v61, v112, v114
	v_sub_f16_e32 v63, v24, v116
	v_mul_f16_e64 v50, v149, v50
	v_fma_f16 v2, -0.5, v96, v2
	v_fmac_f16_e32 v22, 0x3b9c, v60
	v_add_f16_e32 v97, v53, v1
	v_add_f16_e32 v27, v27, v116
	v_fmac_f16_e32 v29, 0xb8b4, v30
	v_add_f16_e32 v61, v61, v63
	v_fma_f16 v31, v31, v103, -v50
	v_fmamk_f16 v50, v30, 0x3b9c, v2
	v_sub_f16_e32 v63, v114, v112
	v_sub_f16_e32 v96, v116, v24
	v_fmac_f16_e32 v22, 0x38b4, v30
	v_add_f16_e32 v98, v12, v7
	v_fmac_f16_e32 v2, 0xbb9c, v30
	v_add_f16_e32 v30, v97, v12
	v_add_f16_e32 v27, v27, v24
	v_fmac_f16_e32 v29, 0x34f2, v61
	v_add_f16_e32 v63, v63, v96
	v_fma_f16 v96, -0.5, v98, v53
	v_sub_f16_e32 v24, v112, v24
	v_fmac_f16_e32 v22, 0x34f2, v61
	v_add_f16_e32 v30, v30, v7
	v_add_f16_e32 v61, v1, v10
	v_sub_f16_e32 v98, v1, v12
	v_sub_f16_e32 v100, v10, v7
	;; [unrolled: 1-line block ×4, first 2 shown]
	v_fmac_f16_e32 v50, 0xb8b4, v60
	v_fmac_f16_e32 v2, 0x38b4, v60
	v_fmamk_f16 v60, v24, 0x3b9c, v96
	v_sub_f16_e32 v97, v114, v116
	v_fmac_f16_e32 v53, -0.5, v61
	v_add_f16_e32 v30, v30, v10
	v_fmac_f16_e32 v96, 0xbb9c, v24
	v_add_f16_e32 v10, v20, v26
	v_add_f16_e32 v1, v1, v7
	;; [unrolled: 1-line block ×3, first 2 shown]
	v_lshrrev_b32_e32 v62, 16, v3
	v_fmac_f16_e32 v50, 0x34f2, v63
	v_fmac_f16_e32 v2, 0x34f2, v63
	;; [unrolled: 1-line block ×3, first 2 shown]
	v_add_f16_e32 v61, v98, v100
	v_fmamk_f16 v63, v97, 0xbb9c, v53
	v_fmac_f16_e32 v96, 0xb8b4, v97
	v_fma_f16 v10, -0.5, v10, v3
	v_sub_f16_e32 v12, v8, v11
	v_fmac_f16_e32 v53, 0x3b9c, v97
	v_add_f16_e32 v7, v7, v20
	v_add_f16_e32 v101, v58, v59
	v_fmac_f16_e32 v60, 0x34f2, v61
	v_fmac_f16_e32 v63, 0x38b4, v24
	;; [unrolled: 1-line block ×3, first 2 shown]
	v_fmamk_f16 v61, v12, 0xbb9c, v10
	v_sub_f16_e32 v97, v13, v4
	v_sub_f16_e32 v98, v58, v20
	;; [unrolled: 1-line block ×3, first 2 shown]
	v_fmac_f16_e32 v53, 0xb8b4, v24
	v_add_f16_e32 v7, v7, v26
	v_fmac_f16_e32 v3, -0.5, v101
	v_fmac_f16_e32 v10, 0x3b9c, v12
	v_add_f16_e32 v101, v62, v8
	v_fmac_f16_e32 v63, 0x34f2, v1
	v_fmac_f16_e32 v61, 0xb8b4, v97
	v_add_f16_e32 v24, v98, v100
	v_fmac_f16_e32 v53, 0x34f2, v1
	v_add_f16_e32 v1, v7, v59
	v_fmamk_f16 v7, v97, 0x3b9c, v3
	v_sub_f16_e32 v98, v20, v58
	v_sub_f16_e32 v100, v26, v59
	v_fmac_f16_e32 v10, 0x38b4, v97
	v_add_f16_e32 v102, v13, v4
	v_fmac_f16_e32 v3, 0xbb9c, v97
	v_add_f16_e32 v97, v101, v13
	;; [unrolled: 2-line block ×3, first 2 shown]
	v_fma_f16 v100, -0.5, v102, v62
	v_sub_f16_e32 v58, v58, v59
	v_fmac_f16_e32 v3, 0x38b4, v12
	v_add_f16_e32 v12, v97, v4
	v_add_f16_e32 v59, v8, v11
	v_fmac_f16_e32 v61, 0x34f2, v24
	v_fmac_f16_e32 v10, 0x34f2, v24
	v_fmamk_f16 v24, v58, 0x3b9c, v100
	v_sub_f16_e32 v20, v20, v26
	v_sub_f16_e32 v26, v8, v13
	;; [unrolled: 1-line block ×3, first 2 shown]
	v_fmac_f16_e32 v62, -0.5, v59
	v_add_f16_e32 v12, v12, v11
	v_fmac_f16_e32 v100, 0xbb9c, v58
	v_sub_f16_e32 v8, v13, v8
	v_sub_f16_e32 v4, v4, v11
	v_add_f16_e32 v11, v25, v23
	v_fmac_f16_e32 v24, 0x38b4, v20
	v_add_f16_e32 v26, v26, v97
	v_fmamk_f16 v59, v20, 0xbb9c, v62
	v_fmac_f16_e32 v100, 0xb8b4, v20
	v_add_f16_e32 v4, v8, v4
	v_fmac_f16_e32 v62, 0x3b9c, v20
	v_add_f16_e32 v8, v0, v21
	v_fma_f16 v11, -0.5, v11, v0
	v_sub_f16_e32 v13, v9, v31
	v_fmac_f16_e32 v7, 0x34f2, v98
	v_fmac_f16_e32 v3, 0x34f2, v98
	;; [unrolled: 1-line block ×6, first 2 shown]
	v_add_f16_e32 v8, v8, v25
	v_fmamk_f16 v20, v13, 0xbb9c, v11
	v_sub_f16_e32 v26, v6, v5
	v_sub_f16_e32 v58, v21, v25
	;; [unrolled: 1-line block ×3, first 2 shown]
	v_fmac_f16_e32 v11, 0x3b9c, v13
	v_add_f16_e32 v98, v21, v28
	v_lshrrev_b32_e32 v99, 16, v0
	v_add_f16_e32 v8, v8, v23
	v_fmac_f16_e32 v20, 0xb8b4, v26
	v_add_f16_e32 v58, v58, v97
	v_fmac_f16_e32 v11, 0x38b4, v26
	v_fmac_f16_e32 v0, -0.5, v98
	v_sub_f16_e32 v97, v25, v21
	v_sub_f16_e32 v98, v23, v28
	v_fmac_f16_e32 v59, 0x34f2, v4
	v_fmac_f16_e32 v62, 0x34f2, v4
	v_add_f16_e32 v4, v8, v28
	v_fmac_f16_e32 v20, 0x34f2, v58
	v_fmac_f16_e32 v11, 0x34f2, v58
	v_fmamk_f16 v8, v26, 0x3b9c, v0
	v_add_f16_e32 v58, v6, v5
	v_fmac_f16_e32 v0, 0xbb9c, v26
	v_add_f16_e32 v26, v99, v9
	v_sub_f16_e32 v21, v21, v28
	v_add_f16_e32 v28, v97, v98
	v_add_f16_e32 v97, v9, v31
	v_fma_f16 v58, -0.5, v58, v99
	v_fmac_f16_e32 v8, 0xb8b4, v13
	v_fmac_f16_e32 v0, 0x38b4, v13
	v_add_f16_e32 v13, v26, v6
	v_sub_f16_e32 v23, v25, v23
	v_fmac_f16_e32 v99, -0.5, v97
	v_fmamk_f16 v26, v21, 0x3b9c, v58
	v_fmac_f16_e32 v8, 0x34f2, v28
	v_fmac_f16_e32 v0, 0x34f2, v28
	v_add_f16_e32 v13, v13, v5
	v_sub_f16_e32 v25, v9, v6
	v_sub_f16_e32 v28, v31, v5
	v_fmac_f16_e32 v58, 0xbb9c, v21
	v_fmamk_f16 v97, v23, 0xbb9c, v99
	v_sub_f16_e32 v6, v6, v9
	v_sub_f16_e32 v5, v5, v31
	v_fmac_f16_e32 v99, 0x3b9c, v23
	v_fmac_f16_e32 v26, 0x38b4, v23
	v_add_f16_e32 v9, v25, v28
	v_fmac_f16_e32 v58, 0xb8b4, v23
	v_fmac_f16_e32 v97, 0x38b4, v21
	v_add_f16_e32 v5, v6, v5
	v_fmac_f16_e32 v99, 0xb8b4, v21
	v_fmac_f16_e32 v26, 0x34f2, v9
	;; [unrolled: 1-line block ×3, first 2 shown]
	v_pack_b32_f16 v9, v29, v60
	v_fmac_f16_e32 v97, 0x34f2, v5
	v_fmac_f16_e32 v99, 0x34f2, v5
	v_pack_b32_f16 v5, v27, v30
	v_add_f16_e32 v6, v13, v31
	v_pack_b32_f16 v13, v50, v63
	v_pack_b32_f16 v2, v2, v53
	;; [unrolled: 1-line block ×5, first 2 shown]
	global_wb scope:SCOPE_SE
	s_barrier_signal -1
	s_barrier_wait -1
	global_inv scope:SCOPE_SE
	ds_store_2addr_b32 v107, v5, v9 offset1:25
	ds_store_2addr_b32 v107, v13, v2 offset0:50 offset1:75
	ds_store_b32 v107, v21 offset:400
	ds_store_2addr_b32 v105, v1, v12 offset1:25
	v_pack_b32_f16 v1, v7, v59
	v_pack_b32_f16 v2, v3, v62
	;; [unrolled: 1-line block ×8, first 2 shown]
	ds_store_2addr_b32 v105, v1, v2 offset0:50 offset1:75
	ds_store_b32 v105, v3 offset:400
	ds_store_2addr_b32 v106, v4, v5 offset1:25
	ds_store_2addr_b32 v106, v6, v0 offset0:50 offset1:75
	ds_store_b32 v106, v7 offset:400
	s_and_saveexec_b32 s0, vcc_lo
	s_cbranch_execz .LBB0_29
; %bb.28:
	v_mul_f16_e32 v0, v111, v52
	v_mul_f16_e32 v1, v108, v51
	v_mul_f16_e64 v3, v109, v155
	v_mul_f16_e32 v4, v110, v54
	v_mul_f16_e32 v2, v111, v56
	v_fma_f16 v0, v16, v56, -v0
	v_mul_f16_e32 v5, v110, v57
	v_mul_f16_e64 v6, v109, v156
	v_fma_f16 v4, v17, v57, -v4
	v_mul_f16_e32 v9, v108, v55
	v_fma_f16 v3, v18, v156, -v3
	v_fma_f16 v1, v19, v55, -v1
	v_fmac_f16_e32 v2, v16, v52
	v_fmac_f16_e32 v5, v17, v54
	v_fmac_f16_e64 v6, v18, v155
	v_fmac_f16_e32 v9, v19, v51
	v_add_f16_e32 v10, v0, v1
	v_add_f16_e32 v12, v4, v3
	;; [unrolled: 1-line block ×3, first 2 shown]
	v_sub_f16_e32 v11, v5, v6
	v_sub_f16_e32 v17, v2, v9
	v_fma_f16 v10, -0.5, v10, v15
	v_fmac_f16_e32 v15, -0.5, v12
	v_sub_f16_e32 v13, v4, v0
	v_sub_f16_e32 v16, v3, v1
	v_add_f16_e32 v8, v2, v14
	v_fmamk_f16 v12, v11, 0x3b9c, v10
	v_fmac_f16_e32 v10, 0xbb9c, v11
	v_fmamk_f16 v20, v17, 0xbb9c, v15
	v_fmac_f16_e32 v15, 0x3b9c, v17
	v_add_f16_e32 v7, v4, v7
	v_add_f16_e32 v13, v13, v16
	v_fmac_f16_e32 v12, 0xb8b4, v17
	v_fmac_f16_e32 v10, 0x38b4, v17
	;; [unrolled: 1-line block ×3, first 2 shown]
	v_add_f16_e32 v17, v2, v9
	v_fmac_f16_e32 v15, 0x38b4, v11
	v_add_f16_e32 v11, v5, v6
	v_add_f16_e32 v8, v5, v8
	;; [unrolled: 1-line block ×3, first 2 shown]
	v_sub_f16_e32 v18, v0, v4
	v_fmac_f16_e32 v12, 0x34f2, v13
	v_fmac_f16_e32 v10, 0x34f2, v13
	v_fma_f16 v13, -0.5, v17, v14
	v_sub_f16_e32 v0, v0, v1
	v_fmac_f16_e32 v14, -0.5, v11
	v_sub_f16_e32 v19, v1, v3
	v_sub_f16_e32 v3, v4, v3
	v_add_f16_e32 v8, v6, v8
	v_add_f16_e32 v7, v1, v7
	v_sub_f16_e32 v4, v5, v2
	v_sub_f16_e32 v1, v6, v9
	;; [unrolled: 1-line block ×4, first 2 shown]
	v_fmamk_f16 v6, v0, 0x3b9c, v14
	v_fmac_f16_e32 v14, 0xbb9c, v0
	v_fmamk_f16 v11, v3, 0xbb9c, v13
	v_fmac_f16_e32 v13, 0x3b9c, v3
	v_add_f16_e32 v16, v18, v19
	v_add_f16_e32 v2, v2, v5
	v_fmac_f16_e32 v14, 0xb8b4, v3
	v_add_f16_e32 v1, v4, v1
	v_fmac_f16_e32 v11, 0x38b4, v0
	v_fmac_f16_e32 v13, 0xb8b4, v0
	;; [unrolled: 1-line block ×3, first 2 shown]
	v_add_f16_e32 v8, v9, v8
	v_fmac_f16_e32 v15, 0x34f2, v16
	v_fmac_f16_e32 v14, 0x34f2, v2
	v_lshlrev_b32_e32 v0, 2, v104
	v_fmac_f16_e32 v11, 0x34f2, v1
	v_fmac_f16_e32 v13, 0x34f2, v1
	;; [unrolled: 1-line block ×4, first 2 shown]
	v_pack_b32_f16 v1, v8, v7
	v_pack_b32_f16 v2, v14, v15
	v_add_nc_u32_e32 v3, 0x1c00, v0
	v_pack_b32_f16 v4, v13, v10
	v_pack_b32_f16 v5, v11, v12
	;; [unrolled: 1-line block ×3, first 2 shown]
	ds_store_2addr_b32 v3, v1, v2 offset0:83 offset1:108
	ds_store_2addr_b32 v3, v4, v5 offset0:133 offset1:158
	ds_store_b32 v0, v6 offset:7900
.LBB0_29:
	s_wait_alu 0xfffe
	s_or_b32 exec_lo, exec_lo, s0
	v_add_nc_u32_e32 v16, 0x200, v64
	global_wb scope:SCOPE_SE
	s_wait_dscnt 0x0
	s_barrier_signal -1
	s_barrier_wait -1
	global_inv scope:SCOPE_SE
	ds_load_2addr_b32 v[0:1], v64 offset1:125
	ds_load_2addr_b32 v[2:3], v16 offset0:122 offset1:247
	v_add_nc_u32_e32 v17, 0x600, v64
	v_add_nc_u32_e32 v18, 0xa00, v64
	;; [unrolled: 1-line block ×5, first 2 shown]
	ds_load_2addr_b32 v[4:5], v17 offset0:116 offset1:241
	ds_load_2addr_b32 v[6:7], v18 offset0:110 offset1:235
	;; [unrolled: 1-line block ×4, first 2 shown]
	v_add_nc_u32_e32 v22, 0x1a00, v64
	ds_load_2addr_b32 v[12:13], v21 offset0:92 offset1:217
	ds_load_2addr_b32 v[14:15], v22 offset0:86 offset1:211
	s_mov_b32 s10, 0xd2f1a9fc
	s_mov_b32 s11, 0x3f40624d
	s_wait_dscnt 0x7
	v_lshrrev_b32_e32 v24, 16, v1
	s_wait_dscnt 0x6
	v_lshrrev_b32_e32 v25, 16, v2
	v_lshrrev_b32_e32 v26, 16, v3
	v_mul_f16_e64 v58, v142, v1
	v_mul_f16_e64 v59, v141, v2
	;; [unrolled: 1-line block ×3, first 2 shown]
	v_lshrrev_b32_e32 v23, 16, v0
	s_wait_dscnt 0x5
	v_lshrrev_b32_e32 v27, 16, v4
	v_mul_f16_e64 v60, v140, v26
	v_fma_f16 v24, v36, v24, -v58
	v_fmac_f16_e32 v54, v36, v1
	v_mul_f16_e64 v1, v141, v25
	v_mul_f16_e64 v36, v140, v3
	v_lshrrev_b32_e32 v28, 16, v5
	s_wait_dscnt 0x4
	v_lshrrev_b32_e32 v29, 16, v6
	v_fmac_f16_e32 v60, v38, v3
	v_fmac_f16_e32 v1, v37, v2
	v_fma_f16 v2, v37, v25, -v59
	v_mul_f16_e64 v3, v139, v27
	v_fma_f16 v25, v38, v26, -v36
	v_mul_f16_e64 v26, v139, v4
	v_lshrrev_b32_e32 v30, 16, v7
	s_wait_dscnt 0x3
	v_lshrrev_b32_e32 v31, 16, v8
	v_mul_f16_e64 v36, v138, v28
	v_mul_f16_e64 v37, v138, v5
	v_fmac_f16_e32 v3, v39, v4
	v_mul_f16_e64 v4, v137, v29
	v_fma_f16 v26, v39, v27, -v26
	v_mul_f16_e64 v27, v137, v6
	v_lshrrev_b32_e32 v50, 16, v9
	s_wait_dscnt 0x2
	v_lshrrev_b32_e32 v51, 16, v10
	v_fmac_f16_e32 v36, v40, v5
	v_fma_f16 v5, v40, v28, -v37
	v_fmac_f16_e32 v4, v41, v6
	v_mul_f16_e64 v6, v136, v30
	v_mul_f16_e64 v28, v136, v7
	;; [unrolled: 1-line block ×3, first 2 shown]
	v_fma_f16 v27, v41, v29, -v27
	v_mul_f16_e64 v29, v135, v8
	v_lshrrev_b32_e32 v52, 16, v11
	v_fmac_f16_e32 v6, v42, v7
	v_fma_f16 v7, v42, v30, -v28
	v_fmac_f16_e32 v37, v43, v8
	v_mul_f16_e64 v8, v134, v50
	v_fma_f16 v28, v43, v31, -v29
	v_mul_f16_e64 v30, v133, v51
	v_mul_f16_e64 v31, v133, v10
	s_wait_dscnt 0x1
	v_lshrrev_b32_e32 v53, 16, v12
	v_mul_f16_e64 v29, v134, v9
	v_fmac_f16_e32 v8, v32, v9
	v_mul_f16_e64 v9, v132, v52
	v_fmac_f16_e32 v30, v33, v10
	v_fma_f16 v10, v33, v51, -v31
	v_mul_f16_e64 v31, v132, v11
	v_lshrrev_b32_e32 v55, 16, v13
	v_fma_f16 v29, v32, v50, -v29
	v_fmac_f16_e32 v9, v34, v11
	v_mul_f16_e64 v11, v130, v53
	v_mul_f16_e64 v32, v130, v12
	v_fma_f16 v31, v34, v52, -v31
	v_mul_f16_e64 v34, v128, v13
	s_wait_dscnt 0x0
	v_lshrrev_b32_e32 v56, 16, v14
	v_mul_f16_e64 v33, v128, v55
	v_fmac_f16_e32 v11, v35, v12
	v_fma_f16 v12, v35, v53, -v32
	v_fma_f16 v32, v44, v55, -v34
	v_mul_f16_e32 v34, v125, v14
	v_lshrrev_b32_e32 v57, 16, v15
	v_fmac_f16_e32 v33, v44, v13
	v_mul_f16_e32 v13, v125, v56
	v_sub_f16_e32 v28, v23, v28
	v_fma_f16 v34, v45, v56, -v34
	v_mul_f16_e32 v35, v124, v57
	v_sub_f16_e32 v12, v26, v12
	v_fmac_f16_e32 v13, v45, v14
	v_sub_f16_e32 v10, v2, v10
	v_sub_f16_e32 v34, v27, v34
	v_mul_f16_e32 v38, v124, v15
	v_sub_f16_e32 v14, v0, v37
	v_fmac_f16_e32 v35, v46, v15
	v_sub_f16_e32 v11, v3, v11
	v_sub_f16_e32 v30, v1, v30
	v_fma_f16 v23, v23, 2.0, -v28
	v_fma_f16 v26, v26, 2.0, -v12
	v_sub_f16_e32 v13, v4, v13
	v_fma_f16 v2, v2, 2.0, -v10
	v_fma_f16 v27, v27, 2.0, -v34
	v_fma_f16 v15, v46, v57, -v38
	v_fma_f16 v3, v3, 2.0, -v11
	v_sub_f16_e32 v8, v54, v8
	v_fma_f16 v4, v4, 2.0, -v13
	v_sub_f16_e32 v33, v36, v33
	v_sub_f16_e32 v9, v60, v9
	;; [unrolled: 1-line block ×4, first 2 shown]
	v_add_f16_e32 v12, v14, v12
	v_sub_f16_e32 v11, v28, v11
	v_sub_f16_e32 v27, v2, v27
	v_add_f16_e32 v34, v30, v34
	v_sub_f16_e32 v13, v10, v13
	v_fma_f16 v0, v0, 2.0, -v14
	v_fma_f16 v1, v1, 2.0, -v30
	v_sub_f16_e32 v29, v24, v29
	v_fma_f16 v37, v54, 2.0, -v8
	v_sub_f16_e32 v32, v5, v32
	;; [unrolled: 2-line block ×3, first 2 shown]
	v_sub_f16_e32 v15, v7, v15
	v_fma_f16 v38, v60, 2.0, -v9
	v_fma_f16 v6, v6, 2.0, -v35
	;; [unrolled: 1-line block ×10, first 2 shown]
	v_sub_f16_e32 v36, v37, v36
	v_add_f16_e32 v32, v8, v32
	v_sub_f16_e32 v33, v29, v33
	v_sub_f16_e32 v6, v38, v6
	v_add_f16_e32 v15, v9, v15
	v_sub_f16_e32 v35, v31, v35
	v_fmamk_f16 v39, v30, 0xb9a8, v14
	v_sub_f16_e32 v2, v23, v2
	v_fmamk_f16 v40, v10, 0xb9a8, v28
	v_fma_f16 v24, v24, 2.0, -v29
	v_fma_f16 v25, v25, 2.0, -v31
	;; [unrolled: 1-line block ×8, first 2 shown]
	v_fmac_f16_e32 v39, 0x39a8, v10
	v_fma_f16 v10, v23, 2.0, -v2
	v_fmac_f16_e32 v40, 0xb9a8, v30
	v_fmamk_f16 v23, v34, 0x39a8, v12
	v_fmamk_f16 v30, v13, 0x39a8, v11
	v_sub_f16_e32 v3, v0, v3
	v_sub_f16_e32 v4, v1, v4
	;; [unrolled: 1-line block ×3, first 2 shown]
	v_fmac_f16_e32 v23, 0x39a8, v13
	v_fma_f16 v13, v28, 2.0, -v40
	v_fmac_f16_e32 v30, 0xb9a8, v34
	v_fmamk_f16 v28, v9, 0xb9a8, v8
	v_sub_f16_e32 v34, v37, v38
	v_fmamk_f16 v38, v31, 0xb9a8, v29
	v_sub_f16_e32 v7, v25, v7
	v_fma_f16 v1, v1, 2.0, -v4
	v_fmac_f16_e32 v28, 0x39a8, v31
	v_fma_f16 v14, v14, 2.0, -v39
	v_fmac_f16_e32 v38, 0xb9a8, v9
	v_fmamk_f16 v9, v15, 0x39a8, v32
	v_fma_f16 v25, v25, 2.0, -v7
	v_add_f16_e32 v27, v3, v27
	v_sub_f16_e32 v4, v26, v4
	v_fma_f16 v31, v37, 2.0, -v34
	v_fma_f16 v8, v8, 2.0, -v28
	v_add_f16_e32 v7, v36, v7
	v_sub_f16_e32 v6, v5, v6
	v_fmamk_f16 v37, v35, 0x39a8, v33
	v_fmac_f16_e32 v9, 0x39a8, v35
	v_fma_f16 v29, v29, 2.0, -v38
	v_fma_f16 v0, v0, 2.0, -v3
	;; [unrolled: 1-line block ×7, first 2 shown]
	v_fmac_f16_e32 v37, 0xb9a8, v15
	v_fma_f16 v15, v32, 2.0, -v9
	v_fmamk_f16 v32, v8, 0xbb64, v14
	v_fmamk_f16 v36, v29, 0xbb64, v13
	v_fma_f16 v11, v11, 2.0, -v30
	v_fma_f16 v33, v33, 2.0, -v37
	;; [unrolled: 1-line block ×3, first 2 shown]
	v_fmac_f16_e32 v32, 0x361f, v29
	v_fmamk_f16 v29, v35, 0xb9a8, v3
	v_fmac_f16_e32 v36, 0xb61f, v8
	v_fmamk_f16 v8, v5, 0xb9a8, v26
	v_sub_f16_e32 v1, v0, v1
	v_sub_f16_e32 v25, v24, v25
	v_fmac_f16_e32 v29, 0x39a8, v5
	v_fmamk_f16 v5, v33, 0xb61f, v11
	v_fmac_f16_e32 v8, 0xb9a8, v35
	v_fmamk_f16 v41, v15, 0xb61f, v12
	v_fma_f16 v0, v0, 2.0, -v1
	v_fma_f16 v24, v24, 2.0, -v25
	v_fmac_f16_e32 v5, 0xbb64, v15
	v_fma_f16 v15, v26, 2.0, -v8
	v_fmamk_f16 v26, v28, 0x361f, v39
	v_fmac_f16_e32 v41, 0x3b64, v33
	v_sub_f16_e32 v33, v2, v34
	v_fmamk_f16 v34, v38, 0x361f, v40
	v_fmamk_f16 v35, v7, 0x39a8, v27
	v_fmac_f16_e32 v26, 0x3b64, v38
	v_fmamk_f16 v38, v6, 0x39a8, v4
	v_sub_f16_e32 v31, v0, v31
	v_sub_f16_e32 v24, v10, v24
	v_fmac_f16_e32 v35, 0x39a8, v6
	v_fmamk_f16 v6, v9, 0x3b64, v23
	v_fmac_f16_e32 v38, 0xb9a8, v7
	v_fmamk_f16 v7, v37, 0x3b64, v30
	v_add_f16_e32 v25, v1, v25
	v_fmac_f16_e32 v34, 0xbb64, v28
	v_fma_f16 v0, v0, 2.0, -v31
	v_fma_f16 v10, v10, 2.0, -v24
	;; [unrolled: 1-line block ×6, first 2 shown]
	v_fmac_f16_e32 v6, 0x361f, v37
	v_fmac_f16_e32 v7, 0xb61f, v9
	v_fma_f16 v3, v3, 2.0, -v29
	v_fma_f16 v1, v1, 2.0, -v25
	;; [unrolled: 1-line block ×7, first 2 shown]
	v_pack_b32_f16 v0, v0, v10
	v_pack_b32_f16 v9, v14, v13
	v_pack_b32_f16 v10, v12, v11
	v_fma_f16 v11, v23, 2.0, -v6
	v_fma_f16 v12, v30, 2.0, -v7
	v_pack_b32_f16 v3, v3, v15
	v_pack_b32_f16 v1, v1, v2
	;; [unrolled: 1-line block ×3, first 2 shown]
	ds_store_2addr_b32 v64, v0, v9 offset1:125
	ds_store_2addr_b32 v16, v3, v10 offset0:122 offset1:247
	ds_store_2addr_b32 v17, v1, v2 offset0:116 offset1:241
	v_pack_b32_f16 v0, v27, v4
	v_pack_b32_f16 v1, v11, v12
	;; [unrolled: 1-line block ×10, first 2 shown]
	ds_store_2addr_b32 v18, v0, v1 offset0:110 offset1:235
	ds_store_2addr_b32 v19, v2, v3 offset0:104 offset1:229
	;; [unrolled: 1-line block ×5, first 2 shown]
	global_wb scope:SCOPE_SE
	s_wait_dscnt 0x0
	s_barrier_signal -1
	s_barrier_wait -1
	global_inv scope:SCOPE_SE
	ds_load_2addr_b32 v[6:7], v64 offset1:125
	s_wait_dscnt 0x0
	v_lshrrev_b32_e32 v2, 16, v6
	v_mul_f16_e32 v3, v95, v6
	s_delay_alu instid0(VALU_DEP_2) | instskip(NEXT) | instid1(VALU_DEP_2)
	v_mul_f16_e32 v0, v95, v2
	v_fma_f16 v2, v91, v2, -v3
	s_delay_alu instid0(VALU_DEP_2) | instskip(NEXT) | instid1(VALU_DEP_2)
	v_fmac_f16_e32 v0, v91, v6
	v_cvt_f32_f16_e32 v2, v2
	v_add_nc_u32_e32 v6, 0x300, v64
	s_delay_alu instid0(VALU_DEP_3) | instskip(NEXT) | instid1(VALU_DEP_3)
	v_cvt_f32_f16_e32 v0, v0
	v_cvt_f64_f32_e32 v[2:3], v2
	s_delay_alu instid0(VALU_DEP_2) | instskip(SKIP_1) | instid1(VALU_DEP_2)
	v_cvt_f64_f32_e32 v[0:1], v0
	s_wait_alu 0xfffe
	v_mul_f64_e32 v[4:5], s[10:11], v[2:3]
	ds_load_2addr_b32 v[2:3], v6 offset0:58 offset1:208
	v_mul_f64_e32 v[0:1], s[10:11], v[0:1]
	s_wait_dscnt 0x0
	v_lshrrev_b32_e32 v10, 16, v3
	v_and_or_b32 v4, 0x1ff, v5, v4
	v_bfe_u32 v15, v5, 20, 11
	s_delay_alu instid0(VALU_DEP_4) | instskip(SKIP_2) | instid1(VALU_DEP_4)
	v_and_or_b32 v0, 0x1ff, v1, v0
	v_lshrrev_b32_e32 v6, 8, v1
	v_bfe_u32 v11, v1, 20, 11
	v_add_nc_u32_e32 v18, 0xfffffc10, v15
	s_delay_alu instid0(VALU_DEP_4) | instskip(NEXT) | instid1(VALU_DEP_3)
	v_cmp_ne_u32_e64 s0, 0, v0
	v_sub_nc_u32_e32 v8, 0x3f1, v11
	v_add_nc_u32_e32 v16, 0xfffffc10, v11
	s_delay_alu instid0(VALU_DEP_4) | instskip(SKIP_4) | instid1(VALU_DEP_3)
	v_cmp_gt_i32_e64 s2, 1, v18
	s_wait_alu 0xf1ff
	v_cndmask_b32_e64 v0, 0, 1, s0
	v_cmp_ne_u32_e64 s0, 0, v4
	v_med3_i32 v13, v8, 0, 13
	v_and_or_b32 v0, 0xffe, v6, v0
	v_mul_f16_e32 v6, v94, v10
	s_wait_alu 0xf1ff
	v_cndmask_b32_e64 v4, 0, 1, s0
	s_delay_alu instid0(VALU_DEP_3) | instskip(NEXT) | instid1(VALU_DEP_3)
	v_or_b32_e32 v12, 0x1000, v0
	v_fmac_f16_e32 v6, v93, v3
	v_mul_f16_e32 v3, v94, v3
	v_lshl_or_b32 v11, v16, 12, v0
	s_delay_alu instid0(VALU_DEP_4) | instskip(NEXT) | instid1(VALU_DEP_4)
	v_lshrrev_b32_e32 v14, v13, v12
	v_cvt_f32_f16_e32 v6, v6
	s_delay_alu instid0(VALU_DEP_4) | instskip(NEXT) | instid1(VALU_DEP_2)
	v_fma_f16 v3, v93, v10, -v3
	v_cvt_f64_f32_e32 v[8:9], v6
	s_delay_alu instid0(VALU_DEP_4) | instskip(SKIP_1) | instid1(VALU_DEP_4)
	v_lshlrev_b32_e32 v6, v13, v14
	v_lshrrev_b32_e32 v13, 8, v5
	v_cvt_f32_f16_e32 v3, v3
	s_delay_alu instid0(VALU_DEP_3) | instskip(NEXT) | instid1(VALU_DEP_3)
	v_cmp_ne_u32_e64 s0, v6, v12
	v_and_or_b32 v17, 0xffe, v13, v4
	v_sub_nc_u32_e32 v4, 0x3f1, v15
	s_wait_alu 0xf1ff
	s_delay_alu instid0(VALU_DEP_3) | instskip(NEXT) | instid1(VALU_DEP_3)
	v_cndmask_b32_e64 v6, 0, 1, s0
	v_or_b32_e32 v12, 0x1000, v17
	s_delay_alu instid0(VALU_DEP_3) | instskip(SKIP_3) | instid1(VALU_DEP_4)
	v_med3_i32 v4, v4, 0, 13
	v_cmp_gt_i32_e64 s0, 1, v16
	v_lshl_or_b32 v15, v18, 12, v17
	v_or_b32_e32 v6, v14, v6
	v_lshrrev_b32_e32 v13, v4, v12
	s_wait_alu 0xf1ff
	s_delay_alu instid0(VALU_DEP_2) | instskip(SKIP_1) | instid1(VALU_DEP_3)
	v_cndmask_b32_e64 v6, v11, v6, s0
	v_cvt_f64_f32_e32 v[10:11], v3
	v_lshlrev_b32_e32 v4, v4, v13
	s_delay_alu instid0(VALU_DEP_3) | instskip(SKIP_1) | instid1(VALU_DEP_3)
	v_and_b32_e32 v14, 7, v6
	v_lshrrev_b32_e32 v6, 2, v6
	v_cmp_ne_u32_e64 s1, v4, v12
	v_add_nc_u32_e32 v12, 0xc00, v64
	s_delay_alu instid0(VALU_DEP_4) | instskip(SKIP_1) | instid1(VALU_DEP_3)
	v_cmp_lt_i32_e64 s0, 5, v14
	s_wait_alu 0xf1ff
	v_cndmask_b32_e64 v4, 0, 1, s1
	v_cmp_eq_u32_e64 s1, 3, v14
	v_mul_f64_e32 v[8:9], s[10:11], v[8:9]
	s_delay_alu instid0(VALU_DEP_3)
	v_or_b32_e32 v14, v13, v4
	ds_load_2addr_b32 v[3:4], v12 offset0:32 offset1:157
	s_or_b32 s0, s1, s0
	v_mad_co_u64_u32 v[12:13], null, s6, v49, 0
	s_wait_alu 0xfffe
	v_add_co_ci_u32_e64 v6, s0, 0, v6, s0
	v_cmp_ne_u32_e64 s0, 0, v0
	v_cndmask_b32_e64 v14, v15, v14, s2
	v_cmp_eq_u32_e64 s2, 0x40f, v16
	v_mov_b32_e32 v0, v13
	s_wait_alu 0xf1ff
	v_cndmask_b32_e64 v15, 0, 1, s0
	v_cmp_gt_i32_e64 s0, 31, v16
	v_and_b32_e32 v19, 7, v14
	s_delay_alu instid0(VALU_DEP_3) | instskip(SKIP_1) | instid1(VALU_DEP_3)
	v_lshl_or_b32 v13, v15, 9, 0x7c00
	s_wait_alu 0xf1ff
	v_cndmask_b32_e64 v6, 0x7c00, v6, s0
	s_delay_alu instid0(VALU_DEP_3)
	v_cmp_lt_i32_e64 s0, 5, v19
	v_cmp_eq_u32_e64 s1, 3, v19
	s_wait_dscnt 0x0
	v_lshrrev_b32_e32 v19, 16, v3
	v_mul_f64_e32 v[10:11], s[10:11], v[10:11]
	v_cndmask_b32_e64 v6, v6, v13, s2
	v_lshrrev_b32_e32 v13, 2, v14
	s_or_b32 s0, s1, s0
	v_mul_f16_e32 v15, v92, v19
	v_lshrrev_b32_e32 v14, 16, v1
	v_mad_co_u64_u32 v[0:1], null, s7, v49, v[0:1]
	s_wait_alu 0xfffe
	v_add_co_ci_u32_e64 v13, s0, 0, v13, s0
	v_fmac_f16_e32 v15, v89, v3
	v_cmp_gt_i32_e64 s0, 31, v18
	v_and_or_b32 v20, 0x8000, v14, v6
	v_mul_f16_e32 v3, v92, v3
	s_delay_alu instid0(VALU_DEP_4)
	v_cvt_f32_f16_e32 v6, v15
	s_wait_alu 0xf1ff
	v_cndmask_b32_e64 v1, 0x7c00, v13, s0
	v_cmp_ne_u32_e64 s0, 0, v17
	v_and_or_b32 v8, 0x1ff, v9, v8
	v_mad_co_u64_u32 v[14:15], null, s4, v87, 0
	v_cvt_f64_f32_e32 v[16:17], v6
	s_wait_alu 0xf1ff
	v_cndmask_b32_e64 v13, 0, 1, s0
	v_cmp_ne_u32_e64 s0, 0, v8
	v_bfe_u32 v21, v9, 20, 11
	v_and_b32_e32 v20, 0xffff, v20
	v_fma_f16 v3, v89, v19, -v3
	v_lshl_or_b32 v6, v13, 9, 0x7c00
	s_wait_alu 0xf1ff
	v_cndmask_b32_e64 v8, 0, 1, s0
	v_cmp_eq_u32_e64 s0, 0x40f, v18
	v_lshrrev_b32_e32 v13, 8, v9
	v_cvt_f32_f16_e32 v3, v3
	v_lshrrev_b32_e32 v9, 16, v9
	s_wait_alu 0xf1ff
	v_cndmask_b32_e64 v18, v1, v6, s0
	v_mov_b32_e32 v1, v15
	v_and_or_b32 v8, 0xffe, v13, v8
	v_sub_nc_u32_e32 v13, 0x3f1, v21
	v_lshrrev_b32_e32 v15, 16, v5
	s_delay_alu instid0(VALU_DEP_4) | instskip(NEXT) | instid1(VALU_DEP_4)
	v_mad_co_u64_u32 v[5:6], null, s5, v87, v[1:2]
	v_or_b32_e32 v6, 0x1000, v8
	s_delay_alu instid0(VALU_DEP_4) | instskip(SKIP_3) | instid1(VALU_DEP_4)
	v_med3_i32 v22, v13, 0, 13
	v_mov_b32_e32 v13, v0
	v_and_or_b32 v18, 0x8000, v15, v18
	v_mov_b32_e32 v15, v5
	v_lshrrev_b32_e32 v23, v22, v6
	s_delay_alu instid0(VALU_DEP_4) | instskip(NEXT) | instid1(VALU_DEP_4)
	v_lshlrev_b64_e32 v[0:1], 2, v[12:13]
	v_lshl_or_b32 v18, v18, 16, v20
	s_delay_alu instid0(VALU_DEP_4) | instskip(NEXT) | instid1(VALU_DEP_4)
	v_lshlrev_b64_e32 v[14:15], 2, v[14:15]
	v_lshlrev_b32_e32 v5, v22, v23
	s_delay_alu instid0(VALU_DEP_4)
	v_add_co_u32 v19, s0, s8, v0
	s_wait_alu 0xf1ff
	v_add_co_ci_u32_e64 v20, s0, s9, v1, s0
	v_and_or_b32 v0, 0x1ff, v11, v10
	v_cmp_ne_u32_e64 s0, v5, v6
	v_mul_f64_e32 v[12:13], s[10:11], v[16:17]
	v_cvt_f64_f32_e32 v[5:6], v3
	v_add_nc_u32_e32 v10, 0xfffffc10, v21
	v_lshrrev_b32_e32 v3, 8, v11
	s_wait_alu 0xf1ff
	v_cndmask_b32_e64 v1, 0, 1, s0
	v_cmp_ne_u32_e64 s0, 0, v0
	v_bfe_u32 v16, v11, 20, 11
	v_add_nc_u32_e32 v0, 0x1000, v64
	v_lshl_or_b32 v22, v10, 12, v8
	v_or_b32_e32 v17, v23, v1
	s_wait_alu 0xf1ff
	v_cndmask_b32_e64 v21, 0, 1, s0
	v_cmp_gt_i32_e64 s0, 1, v10
	ds_load_2addr_b32 v[0:1], v0 offset0:26 offset1:176
	v_and_or_b32 v3, 0xffe, v3, v21
	v_sub_nc_u32_e32 v21, 0x3f1, v16
	s_wait_alu 0xf1ff
	v_cndmask_b32_e64 v17, v22, v17, s0
	v_add_co_u32 v14, s0, v19, v14
	v_or_b32_e32 v22, 0x1000, v3
	v_med3_i32 v21, v21, 0, 13
	s_wait_alu 0xf1ff
	v_add_co_ci_u32_e64 v15, s0, v20, v15, s0
	v_and_b32_e32 v20, 7, v17
	v_lshrrev_b32_e32 v17, 2, v17
	v_lshrrev_b32_e32 v19, v21, v22
	global_store_b32 v[14:15], v18, off
	v_cmp_lt_i32_e64 s0, 5, v20
	v_cmp_eq_u32_e64 s1, 3, v20
	v_lshlrev_b32_e32 v18, v21, v19
	s_wait_dscnt 0x0
	v_lshrrev_b32_e32 v20, 16, v1
	v_add_nc_u32_e32 v21, 0xfffffc10, v16
	s_or_b32 s0, s1, s0
	v_cmp_ne_u32_e64 s2, v18, v22
	s_delay_alu instid0(VALU_DEP_3)
	v_mul_f16_e32 v22, v90, v20
	s_wait_alu 0xfffe
	v_add_co_ci_u32_e64 v23, s0, 0, v17, s0
	v_and_or_b32 v12, 0x1ff, v13, v12
	s_wait_alu 0xf1ff
	v_cndmask_b32_e64 v18, 0, 1, s2
	v_cmp_gt_i32_e64 s0, 1, v21
	v_mul_f64_e32 v[16:17], s[10:11], v[5:6]
	v_fmac_f16_e32 v22, v88, v1
	v_cmp_eq_u32_e64 s2, 0x40f, v10
	v_or_b32_e32 v18, v19, v18
	v_lshl_or_b32 v19, v21, 12, v3
	v_mul_f16_e32 v1, v90, v1
	v_cvt_f32_f16_e32 v5, v22
	v_bfe_u32 v22, v13, 20, 11
	s_wait_alu 0xf1ff
	v_cndmask_b32_e64 v18, v19, v18, s0
	v_cmp_ne_u32_e64 s0, 0, v12
	v_lshrrev_b32_e32 v19, 8, v13
	v_cvt_f64_f32_e32 v[5:6], v5
	v_fma_f16 v1, v88, v20, -v1
	v_and_b32_e32 v24, 7, v18
	s_wait_alu 0xf1ff
	v_cndmask_b32_e64 v12, 0, 1, s0
	v_cmp_ne_u32_e64 s0, 0, v8
	v_lshrrev_b32_e32 v13, 16, v13
	v_cvt_f32_f16_e32 v1, v1
	v_cmp_eq_u32_e64 s1, 3, v24
	v_and_or_b32 v12, 0xffe, v19, v12
	v_sub_nc_u32_e32 v19, 0x3f1, v22
	s_wait_alu 0xf1ff
	v_cndmask_b32_e64 v8, 0, 1, s0
	v_cmp_gt_i32_e64 s0, 31, v10
	v_lshrrev_b32_e32 v10, 2, v18
	v_or_b32_e32 v25, 0x1000, v12
	v_med3_i32 v19, v19, 0, 13
	v_lshl_or_b32 v8, v8, 9, 0x7c00
	s_wait_alu 0xf1ff
	v_cndmask_b32_e64 v23, 0x7c00, v23, s0
	v_cmp_lt_i32_e64 s0, 5, v24
	v_add_nc_u32_e32 v22, 0xfffffc10, v22
	v_lshrrev_b32_e32 v18, v19, v25
	s_delay_alu instid0(VALU_DEP_4) | instskip(NEXT) | instid1(VALU_DEP_4)
	v_cndmask_b32_e64 v8, v23, v8, s2
	s_or_b32 s0, s1, s0
	s_delay_alu instid0(VALU_DEP_3)
	v_lshl_or_b32 v20, v22, 12, v12
	s_wait_alu 0xfffe
	v_add_co_ci_u32_e64 v10, s0, 0, v10, s0
	v_lshlrev_b32_e32 v19, v19, v18
	v_cmp_gt_i32_e64 s0, 31, v21
	v_and_or_b32 v23, 0x8000, v9, v8
	v_and_or_b32 v9, 0x1ff, v17, v16
	s_mul_u64 s[2:3], s[4:5], 0x190
	s_delay_alu instid0(VALU_DEP_3) | instskip(SKIP_4) | instid1(VALU_DEP_2)
	v_cndmask_b32_e64 v10, 0x7c00, v10, s0
	v_cmp_ne_u32_e64 s0, v19, v25
	v_bfe_u32 v25, v17, 20, 11
	s_wait_alu 0xfffe
	s_lshl_b64 s[6:7], s[2:3], 2
	v_cndmask_b32_e64 v8, 0, 1, s0
	v_cmp_ne_u32_e64 s0, 0, v3
	s_delay_alu instid0(VALU_DEP_2) | instskip(SKIP_1) | instid1(VALU_DEP_2)
	v_or_b32_e32 v16, v18, v8
	s_wait_alu 0xf1ff
	v_cndmask_b32_e64 v3, 0, 1, s0
	v_cmp_ne_u32_e64 s0, 0, v9
	v_cvt_f64_f32_e32 v[18:19], v1
	v_lshrrev_b32_e32 v1, 8, v17
	v_mul_f64_e32 v[8:9], s[10:11], v[5:6]
	v_sub_nc_u32_e32 v5, 0x3f1, v25
	s_wait_alu 0xf1ff
	v_cndmask_b32_e64 v24, 0, 1, s0
	v_cmp_gt_i32_e64 s0, 1, v22
	v_lshl_or_b32 v3, v3, 9, 0x7c00
	v_lshrrev_b32_e32 v6, 16, v11
	s_delay_alu instid0(VALU_DEP_4)
	v_and_or_b32 v1, 0xffe, v1, v24
	s_wait_alu 0xf1ff
	v_cndmask_b32_e64 v16, v20, v16, s0
	v_cmp_eq_u32_e64 s0, 0x40f, v21
	v_med3_i32 v20, v5, 0, 13
	v_and_b32_e32 v21, 0xffff, v23
	v_or_b32_e32 v11, 0x1000, v1
	v_add_nc_u32_e32 v5, 0x1800, v64
	s_wait_alu 0xf1ff
	v_cndmask_b32_e64 v3, v10, v3, s0
	v_and_b32_e32 v10, 7, v16
	v_lshrrev_b32_e32 v23, v20, v11
	s_delay_alu instid0(VALU_DEP_3) | instskip(NEXT) | instid1(VALU_DEP_3)
	v_and_or_b32 v3, 0x8000, v6, v3
	v_cmp_lt_i32_e64 s0, 5, v10
	v_cmp_eq_u32_e64 s1, 3, v10
	v_lshrrev_b32_e32 v10, 2, v16
	v_lshlrev_b32_e32 v16, v20, v23
	ds_load_2addr_b32 v[5:6], v5 offset0:64 offset1:189
	v_lshl_or_b32 v3, v3, 16, v21
	s_or_b32 s0, s1, s0
	s_wait_alu 0xfffe
	v_add_co_ci_u32_e64 v10, s0, 0, v10, s0
	v_cmp_ne_u32_e64 s0, v16, v11
	v_add_nc_u32_e32 v16, 0xfffffc10, v25
	s_wait_alu 0xf1ff
	s_delay_alu instid0(VALU_DEP_2) | instskip(SKIP_2) | instid1(VALU_DEP_3)
	v_cndmask_b32_e64 v11, 0, 1, s0
	v_cmp_gt_i32_e64 s0, 31, v22
	v_and_or_b32 v8, 0x1ff, v9, v8
	v_or_b32_e32 v21, v23, v11
	s_wait_alu 0xf1ff
	s_delay_alu instid0(VALU_DEP_3)
	v_cndmask_b32_e64 v20, 0x7c00, v10, s0
	v_cmp_ne_u32_e64 s0, 0, v12
	v_mul_f64_e32 v[10:11], s[10:11], v[18:19]
	v_lshl_or_b32 v23, v16, 12, v1
	s_wait_dscnt 0x0
	v_lshrrev_b32_e32 v24, 16, v5
	v_lshrrev_b32_e32 v19, 8, v9
	s_wait_alu 0xf1ff
	v_cndmask_b32_e64 v12, 0, 1, s0
	v_cmp_gt_i32_e64 s0, 1, v16
	s_delay_alu instid0(VALU_DEP_2) | instskip(SKIP_1) | instid1(VALU_DEP_2)
	v_lshl_or_b32 v12, v12, 9, 0x7c00
	s_wait_alu 0xf1ff
	v_cndmask_b32_e64 v18, v23, v21, s0
	v_cmp_ne_u32_e64 s0, 0, v8
	v_mul_f16_e32 v21, v86, v24
	v_bfe_u32 v23, v9, 20, 11
	s_delay_alu instid0(VALU_DEP_4)
	v_and_b32_e32 v25, 7, v18
	s_wait_alu 0xf1ff
	v_cndmask_b32_e64 v8, 0, 1, s0
	v_fmac_f16_e32 v21, v85, v5
	v_cmp_eq_u32_e64 s0, 0x40f, v22
	v_mul_f16_e32 v5, v86, v5
	v_cmp_eq_u32_e64 s1, 3, v25
	v_and_or_b32 v8, 0xffe, v19, v8
	v_sub_nc_u32_e32 v19, 0x3f1, v23
	s_wait_alu 0xf1ff
	v_cndmask_b32_e64 v12, v20, v12, s0
	v_cmp_lt_i32_e64 s0, 5, v25
	v_cvt_f32_f16_e32 v20, v21
	v_lshrrev_b32_e32 v25, 2, v18
	v_or_b32_e32 v21, 0x1000, v8
	v_med3_i32 v22, v19, 0, 13
	s_or_b32 s0, s1, s0
	v_cvt_f64_f32_e32 v[18:19], v20
	s_wait_alu 0xfffe
	v_add_co_ci_u32_e64 v25, s0, 0, v25, s0
	v_lshrrev_b32_e32 v20, v22, v21
	v_cmp_gt_i32_e64 s0, 31, v16
	v_and_or_b32 v26, 0x8000, v13, v12
	v_fma_f16 v5, v85, v24, -v5
	s_delay_alu instid0(VALU_DEP_4)
	v_lshlrev_b32_e32 v12, v22, v20
	s_wait_alu 0xf1ff
	v_cndmask_b32_e64 v22, 0x7c00, v25, s0
	v_cmp_ne_u32_e64 s0, 0, v1
	v_and_or_b32 v10, 0x1ff, v11, v10
	v_cvt_f32_f16_e32 v5, v5
	v_lshrrev_b32_e32 v24, 8, v11
	v_bfe_u32 v25, v11, 20, 11
	s_wait_alu 0xf1ff
	v_cndmask_b32_e64 v1, 0, 1, s0
	v_cmp_ne_u32_e64 s0, v12, v21
	v_add_nc_u32_e32 v21, 0xfffffc10, v23
	s_delay_alu instid0(VALU_DEP_3) | instskip(SKIP_1) | instid1(VALU_DEP_3)
	v_lshl_or_b32 v1, v1, 9, 0x7c00
	s_wait_alu 0xf1ff
	v_cndmask_b32_e64 v12, 0, 1, s0
	v_cmp_ne_u32_e64 s0, 0, v10
	v_lshl_or_b32 v23, v21, 12, v8
	s_delay_alu instid0(VALU_DEP_3) | instskip(SKIP_1) | instid1(VALU_DEP_3)
	v_or_b32_e32 v20, v20, v12
	s_wait_alu 0xf1ff
	v_cndmask_b32_e64 v10, 0, 1, s0
	v_cmp_gt_i32_e64 s0, 1, v21
	v_cvt_f64_f32_e32 v[12:13], v5
	s_delay_alu instid0(VALU_DEP_3) | instskip(SKIP_1) | instid1(VALU_DEP_3)
	v_and_or_b32 v10, 0xffe, v24, v10
	s_wait_alu 0xf1ff
	v_cndmask_b32_e64 v5, v23, v20, s0
	v_sub_nc_u32_e32 v20, 0x3f1, v25
	v_cmp_eq_u32_e64 s0, 0x40f, v16
	v_or_b32_e32 v24, 0x1000, v10
	s_delay_alu instid0(VALU_DEP_4) | instskip(NEXT) | instid1(VALU_DEP_4)
	v_and_b32_e32 v23, 7, v5
	v_med3_i32 v20, v20, 0, 13
	s_wait_alu 0xf1ff
	v_cndmask_b32_e64 v1, v22, v1, s0
	v_add_co_u32 v14, s0, v14, s6
	s_wait_alu 0xf1ff
	v_add_co_ci_u32_e64 v15, s0, s7, v15, s0
	v_lshrrev_b32_e32 v22, 16, v17
	v_mul_f64_e32 v[16:17], s[10:11], v[18:19]
	v_lshrrev_b32_e32 v19, v20, v24
	v_cmp_lt_i32_e64 s0, 5, v23
	v_cmp_eq_u32_e64 s1, 3, v23
	global_store_b32 v[14:15], v3, off
	v_lshrrev_b32_e32 v3, 2, v5
	v_lshlrev_b32_e32 v5, v20, v19
	v_and_or_b32 v1, 0x8000, v22, v1
	s_or_b32 s0, s1, s0
	v_and_b32_e32 v18, 0xffff, v26
	s_wait_alu 0xfffe
	v_add_co_ci_u32_e64 v3, s0, 0, v3, s0
	v_cmp_ne_u32_e64 s0, v5, v24
	v_lshrrev_b32_e32 v20, 16, v7
	v_lshl_or_b32 v1, v1, 16, v18
	v_add_nc_u32_e32 v18, 0xfffffc10, v25
	s_wait_alu 0xf1ff
	v_cndmask_b32_e64 v5, 0, 1, s0
	v_cmp_ne_u32_e64 s0, 0, v8
	v_mul_f64_e32 v[12:13], s[10:11], v[12:13]
	s_delay_alu instid0(VALU_DEP_3) | instskip(SKIP_1) | instid1(VALU_DEP_3)
	v_or_b32_e32 v5, v19, v5
	s_wait_alu 0xf1ff
	v_cndmask_b32_e64 v8, 0, 1, s0
	v_cmp_gt_i32_e64 s0, 31, v21
	v_lshl_or_b32 v19, v18, 12, v10
	s_delay_alu instid0(VALU_DEP_3) | instskip(SKIP_1) | instid1(VALU_DEP_3)
	v_lshl_or_b32 v8, v8, 9, 0x7c00
	s_wait_alu 0xf1ff
	v_cndmask_b32_e64 v3, 0x7c00, v3, s0
	v_cmp_gt_i32_e64 s0, 1, v18
	s_wait_alu 0xf1ff
	s_delay_alu instid0(VALU_DEP_1)
	v_cndmask_b32_e64 v5, v19, v5, s0
	v_mul_f16_e32 v19, v84, v20
	v_add_co_u32 v14, s0, v14, s6
	s_wait_alu 0xf1ff
	v_add_co_ci_u32_e64 v15, s0, s7, v15, s0
	v_cmp_eq_u32_e64 s0, 0x40f, v21
	v_fmac_f16_e32 v19, v82, v7
	v_and_b32_e32 v22, 7, v5
	v_lshrrev_b32_e32 v5, 2, v5
	v_lshrrev_b32_e32 v21, 8, v17
	s_wait_alu 0xf1ff
	v_cndmask_b32_e64 v3, v3, v8, s0
	v_and_or_b32 v8, 0x1ff, v17, v16
	v_lshrrev_b32_e32 v16, 16, v9
	v_cvt_f32_f16_e32 v9, v19
	v_cmp_lt_i32_e64 s0, 5, v22
	v_cmp_eq_u32_e64 s1, 3, v22
	v_cmp_ne_u32_e64 s2, 0, v8
	v_bfe_u32 v22, v17, 20, 11
	v_cvt_f64_f32_e32 v[8:9], v9
	v_and_or_b32 v3, 0x8000, v16, v3
	s_or_b32 s0, s1, s0
	v_cndmask_b32_e64 v19, 0, 1, s2
	s_wait_alu 0xfffe
	v_add_co_ci_u32_e64 v5, s0, 0, v5, s0
	v_cmp_ne_u32_e64 s0, 0, v10
	v_mul_f16_e32 v7, v84, v7
	v_and_or_b32 v16, 0xffe, v21, v19
	v_sub_nc_u32_e32 v19, 0x3f1, v22
	v_and_or_b32 v12, 0x1ff, v13, v12
	s_wait_alu 0xf1ff
	v_cndmask_b32_e64 v10, 0, 1, s0
	v_cmp_gt_i32_e64 s0, 31, v18
	v_or_b32_e32 v21, 0x1000, v16
	v_med3_i32 v19, v19, 0, 13
	v_fma_f16 v7, v82, v20, -v7
	v_lshl_or_b32 v10, v10, 9, 0x7c00
	s_wait_alu 0xf1ff
	v_cndmask_b32_e64 v5, 0x7c00, v5, s0
	v_cmp_eq_u32_e64 s0, 0x40f, v18
	v_lshrrev_b32_e32 v23, v19, v21
	v_cvt_f32_f16_e32 v7, v7
	v_lshrrev_b32_e32 v18, 16, v11
	v_lshrrev_b32_e32 v20, 8, v13
	s_wait_alu 0xf1ff
	v_cndmask_b32_e64 v5, v5, v10, s0
	v_lshlrev_b32_e32 v19, v19, v23
	v_cmp_ne_u32_e64 s0, 0, v12
	v_cvt_f64_f32_e32 v[10:11], v7
	v_bfe_u32 v24, v13, 20, 11
	v_and_or_b32 v5, 0x8000, v18, v5
	v_and_b32_e32 v3, 0xffff, v3
	s_wait_alu 0xf1ff
	v_cndmask_b32_e64 v12, 0, 1, s0
	v_cmp_ne_u32_e64 s0, v19, v21
	v_add_nc_u32_e32 v21, 0xfffffc10, v22
	global_store_b32 v[14:15], v1, off
	v_lshl_or_b32 v1, v5, 16, v3
	v_and_or_b32 v20, 0xffe, v20, v12
	s_wait_alu 0xf1ff
	v_cndmask_b32_e64 v7, 0, 1, s0
	v_sub_nc_u32_e32 v12, 0x3f1, v24
	v_mul_f64_e32 v[18:19], s[10:11], v[8:9]
	v_lshl_or_b32 v22, v21, 12, v16
	v_cmp_gt_i32_e64 s0, 1, v21
	v_or_b32_e32 v7, v23, v7
	v_or_b32_e32 v23, 0x1000, v20
	v_med3_i32 v9, v12, 0, 13
	v_add_nc_u32_e32 v8, 0x800, v64
	v_lshrrev_b32_e32 v13, 16, v13
	s_wait_alu 0xf1ff
	v_cndmask_b32_e64 v12, v22, v7, s0
	v_add_co_u32 v14, s0, v14, s6
	v_lshrrev_b32_e32 v22, v9, v23
	ds_load_2addr_b32 v[7:8], v8 offset0:13 offset1:138
	v_and_b32_e32 v3, 7, v12
	s_wait_alu 0xf1ff
	v_add_co_ci_u32_e64 v15, s0, s7, v15, s0
	v_lshlrev_b32_e32 v5, v9, v22
	s_delay_alu instid0(VALU_DEP_3) | instskip(SKIP_2) | instid1(VALU_DEP_4)
	v_cmp_lt_i32_e64 s0, 5, v3
	v_cmp_eq_u32_e64 s1, 3, v3
	v_lshrrev_b32_e32 v3, 2, v12
	v_cmp_ne_u32_e64 s2, v5, v23
	v_add_nc_u32_e32 v23, 0xfffffc10, v24
	global_store_b32 v[14:15], v1, off
	s_or_b32 s0, s1, s0
	s_wait_alu 0xfffe
	v_add_co_ci_u32_e64 v3, s0, 0, v3, s0
	v_cndmask_b32_e64 v5, 0, 1, s2
	v_mul_f64_e32 v[9:10], s[10:11], v[10:11]
	v_cmp_ne_u32_e64 s0, 0, v16
	v_lshl_or_b32 v12, v23, 12, v20
	s_delay_alu instid0(VALU_DEP_4)
	v_or_b32_e32 v5, v22, v5
	s_wait_dscnt 0x0
	v_lshrrev_b32_e32 v22, 16, v7
	s_wait_alu 0xf1ff
	v_cndmask_b32_e64 v11, 0, 1, s0
	v_cmp_gt_i32_e64 s0, 1, v23
	v_and_or_b32 v18, 0x1ff, v19, v18
	v_bfe_u32 v24, v19, 20, 11
	s_delay_alu instid0(VALU_DEP_4)
	v_lshl_or_b32 v11, v11, 9, 0x7c00
	s_wait_alu 0xf1ff
	v_cndmask_b32_e64 v5, v12, v5, s0
	v_mul_f16_e32 v12, v83, v22
	v_cmp_gt_i32_e64 s0, 31, v21
	v_cmp_ne_u32_e64 s1, 0, v18
	v_lshrrev_b32_e32 v18, 8, v19
	v_and_b32_e32 v16, 7, v5
	v_fmac_f16_e32 v12, v80, v7
	s_wait_alu 0xf1ff
	v_cndmask_b32_e64 v3, 0x7c00, v3, s0
	v_cmp_eq_u32_e64 s0, 0x40f, v21
	v_lshrrev_b32_e32 v21, 16, v17
	v_cndmask_b32_e64 v17, 0, 1, s1
	v_cmp_eq_u32_e64 s1, 3, v16
	v_lshrrev_b32_e32 v5, 2, v5
	s_wait_alu 0xf1ff
	v_cndmask_b32_e64 v3, v3, v11, s0
	v_cmp_lt_i32_e64 s0, 5, v16
	v_cvt_f32_f16_e32 v11, v12
	v_and_or_b32 v18, 0xffe, v18, v17
	v_sub_nc_u32_e32 v16, 0x3f1, v24
	v_mul_f16_e32 v7, v83, v7
	s_or_b32 s0, s1, s0
	v_cvt_f64_f32_e32 v[11:12], v11
	s_wait_alu 0xfffe
	v_add_co_ci_u32_e64 v5, s0, 0, v5, s0
	v_cmp_ne_u32_e64 s0, 0, v20
	v_or_b32_e32 v20, 0x1000, v18
	v_med3_i32 v16, v16, 0, 13
	v_and_or_b32 v9, 0x1ff, v10, v9
	v_fma_f16 v7, v80, v22, -v7
	s_wait_alu 0xf1ff
	v_cndmask_b32_e64 v17, 0, 1, s0
	v_cmp_gt_i32_e64 s0, 31, v23
	v_lshrrev_b32_e32 v25, v16, v20
	v_bfe_u32 v26, v10, 20, 11
	v_cvt_f32_f16_e32 v7, v7
	v_lshl_or_b32 v17, v17, 9, 0x7c00
	s_wait_alu 0xf1ff
	v_cndmask_b32_e64 v5, 0x7c00, v5, s0
	v_cmp_eq_u32_e64 s0, 0x40f, v23
	v_lshrrev_b32_e32 v23, 8, v10
	v_lshlrev_b32_e32 v22, v16, v25
	v_and_or_b32 v3, 0x8000, v21, v3
	s_wait_alu 0xf1ff
	v_cndmask_b32_e64 v5, v5, v17, s0
	v_cmp_ne_u32_e64 s0, 0, v9
	v_cvt_f64_f32_e32 v[16:17], v7
	v_and_b32_e32 v3, 0xffff, v3
	s_delay_alu instid0(VALU_DEP_4)
	v_and_or_b32 v5, 0x8000, v13, v5
	s_wait_alu 0xf1ff
	v_cndmask_b32_e64 v9, 0, 1, s0
	v_cmp_ne_u32_e64 s0, v22, v20
	v_add_nc_u32_e32 v20, 0xfffffc10, v24
	v_lshl_or_b32 v1, v5, 16, v3
	s_delay_alu instid0(VALU_DEP_4)
	v_and_or_b32 v7, 0xffe, v23, v9
	v_sub_nc_u32_e32 v9, 0x3f1, v26
	s_wait_alu 0xf1ff
	v_cndmask_b32_e64 v13, 0, 1, s0
	v_lshl_or_b32 v22, v20, 12, v18
	v_cmp_gt_i32_e64 s0, 1, v20
	v_or_b32_e32 v21, 0x1000, v7
	v_med3_i32 v9, v9, 0, 13
	v_mul_f64_e32 v[11:12], s[10:11], v[11:12]
	v_or_b32_e32 v13, v25, v13
	s_delay_alu instid0(VALU_DEP_3) | instskip(SKIP_1) | instid1(VALU_DEP_2)
	v_lshrrev_b32_e32 v23, v9, v21
	s_wait_alu 0xf1ff
	v_cndmask_b32_e64 v3, v22, v13, s0
	v_add_co_u32 v13, s0, v14, s6
	s_delay_alu instid0(VALU_DEP_3)
	v_lshlrev_b32_e32 v5, v9, v23
	s_wait_alu 0xf1ff
	v_add_co_ci_u32_e64 v14, s0, s7, v15, s0
	v_and_b32_e32 v9, 7, v3
	v_lshrrev_b32_e32 v3, 2, v3
	v_cmp_ne_u32_e64 s0, v5, v21
	v_add_nc_u32_e32 v21, 0xfffffc10, v26
	global_store_b32 v[13:14], v1, off
	v_lshrrev_b32_e32 v1, 16, v4
	v_cmp_eq_u32_e64 s1, 3, v9
	s_wait_alu 0xf1ff
	v_cndmask_b32_e64 v5, 0, 1, s0
	v_lshl_or_b32 v15, v21, 12, v7
	v_cmp_gt_i32_e64 s2, 1, v21
	v_cmp_lt_i32_e64 s0, 5, v9
	v_mul_f16_e32 v9, v81, v1
	v_or_b32_e32 v5, v23, v5
	s_delay_alu instid0(VALU_DEP_3) | instskip(NEXT) | instid1(VALU_DEP_2)
	s_or_b32 s0, s1, s0
	v_fmac_f16_e32 v9, v78, v4
	s_delay_alu instid0(VALU_DEP_2)
	v_cndmask_b32_e64 v5, v15, v5, s2
	v_mul_f64_e32 v[15:16], s[10:11], v[16:17]
	s_wait_alu 0xfffe
	v_add_co_ci_u32_e64 v3, s0, 0, v3, s0
	v_cmp_ne_u32_e64 s0, 0, v18
	v_and_b32_e32 v22, 7, v5
	v_cvt_f32_f16_e32 v9, v9
	v_lshrrev_b32_e32 v5, 2, v5
	v_mul_f16_e32 v4, v81, v4
	v_and_or_b32 v11, 0x1ff, v12, v11
	s_wait_alu 0xf1ff
	v_cndmask_b32_e64 v17, 0, 1, s0
	v_cmp_gt_i32_e64 s0, 31, v20
	v_cmp_eq_u32_e64 s1, 3, v22
	v_fma_f16 v1, v78, v1, -v4
	v_cmp_ne_u32_e64 s2, 0, v11
	v_lshl_or_b32 v23, v17, 9, 0x7c00
	s_wait_alu 0xf1ff
	v_cndmask_b32_e64 v3, 0x7c00, v3, s0
	v_cmp_lt_i32_e64 s0, 5, v22
	v_cvt_f64_f32_e32 v[17:18], v9
	v_cndmask_b32_e64 v9, 0, 1, s2
	v_lshrrev_b32_e32 v11, 8, v12
	v_bfe_u32 v22, v12, 20, 11
	s_or_b32 s0, s1, s0
	v_cmp_eq_u32_e64 s2, 0x40f, v20
	s_wait_alu 0xfffe
	v_add_co_ci_u32_e64 v5, s0, 0, v5, s0
	v_and_or_b32 v9, 0xffe, v11, v9
	v_sub_nc_u32_e32 v11, 0x3f1, v22
	v_cmp_ne_u32_e64 s0, 0, v7
	v_cvt_f32_f16_e32 v1, v1
	s_wait_alu 0xf1ff
	v_cndmask_b32_e64 v3, v3, v23, s2
	v_or_b32_e32 v20, 0x1000, v9
	v_med3_i32 v11, v11, 0, 13
	v_cndmask_b32_e64 v7, 0, 1, s0
	v_cmp_gt_i32_e64 s0, 31, v21
	v_lshrrev_b32_e32 v23, 16, v19
	v_lshrrev_b32_e32 v12, 16, v12
	;; [unrolled: 1-line block ×3, first 2 shown]
	v_lshl_or_b32 v7, v7, 9, 0x7c00
	s_wait_alu 0xf1ff
	v_cndmask_b32_e64 v5, 0x7c00, v5, s0
	v_and_or_b32 v15, 0x1ff, v16, v15
	v_cmp_eq_u32_e64 s0, 0x40f, v21
	v_add_nc_u32_e32 v21, 0xfffffc10, v22
	v_and_or_b32 v3, 0x8000, v23, v3
	s_wait_alu 0xf1ff
	s_delay_alu instid0(VALU_DEP_3)
	v_cndmask_b32_e64 v5, v5, v7, s0
	v_lshlrev_b32_e32 v7, v11, v24
	v_cmp_ne_u32_e64 s0, 0, v15
	v_lshrrev_b32_e32 v11, 8, v16
	v_bfe_u32 v15, v16, 20, 11
	v_and_b32_e32 v23, 0xffff, v3
	s_wait_alu 0xf1ff
	v_cndmask_b32_e64 v4, 0, 1, s0
	v_cmp_ne_u32_e64 s0, v7, v20
	v_cvt_f64_f32_e32 v[19:20], v1
	v_sub_nc_u32_e32 v1, 0x3f1, v15
	v_mul_f64_e32 v[17:18], s[10:11], v[17:18]
	v_and_or_b32 v11, 0xffe, v11, v4
	s_wait_alu 0xf1ff
	v_cndmask_b32_e64 v7, 0, 1, s0
	v_lshrrev_b32_e32 v4, 16, v10
	v_lshl_or_b32 v10, v21, 12, v9
	v_med3_i32 v1, v1, 0, 13
	v_or_b32_e32 v22, 0x1000, v11
	v_or_b32_e32 v7, v24, v7
	v_cmp_gt_i32_e64 s0, 1, v21
	v_and_or_b32 v5, 0x8000, v4, v5
	v_add_nc_u32_e32 v4, 0x1400, v64
	s_wait_alu 0xf1ff
	s_delay_alu instid0(VALU_DEP_3)
	v_cndmask_b32_e64 v7, v10, v7, s0
	v_lshrrev_b32_e32 v10, v1, v22
	s_movk_i32 s0, 0xfa3d
	s_mov_b32 s1, -1
	ds_load_2addr_b32 v[3:4], v4 offset0:45 offset1:170
	v_and_b32_e32 v24, 7, v7
	v_lshlrev_b32_e32 v1, v1, v10
	s_wait_alu 0xfffe
	s_mul_u64 s[2:3], s[4:5], s[0:1]
	v_lshrrev_b32_e32 v7, 2, v7
	v_lshl_or_b32 v23, v5, 16, v23
	v_cmp_lt_i32_e64 s0, 5, v24
	v_cmp_ne_u32_e64 s1, v1, v22
	v_add_nc_u32_e32 v5, 0xfffffc10, v15
	s_wait_alu 0xfffe
	s_lshl_b64 s[4:5], s[2:3], 2
	s_delay_alu instid0(VALU_DEP_2) | instskip(SKIP_1) | instid1(VALU_DEP_2)
	v_cndmask_b32_e64 v1, 0, 1, s1
	v_cmp_eq_u32_e64 s1, 3, v24
	v_or_b32_e32 v1, v10, v1
	s_delay_alu instid0(VALU_DEP_2)
	s_or_b32 s0, s1, s0
	v_lshl_or_b32 v10, v5, 12, v11
	s_wait_alu 0xfffe
	v_add_co_ci_u32_e64 v7, s0, 0, v7, s0
	v_cmp_ne_u32_e64 s0, 0, v9
	s_wait_dscnt 0x0
	v_lshrrev_b32_e32 v22, 16, v3
	v_and_or_b32 v17, 0x1ff, v18, v17
	v_lshrrev_b32_e32 v24, 8, v18
	v_bfe_u32 v25, v18, 20, 11
	s_wait_alu 0xf1ff
	v_cndmask_b32_e64 v15, 0, 1, s0
	v_cmp_gt_i32_e64 s0, 1, v5
	s_delay_alu instid0(VALU_DEP_2) | instskip(SKIP_1) | instid1(VALU_DEP_2)
	v_lshl_or_b32 v15, v15, 9, 0x7c00
	s_wait_alu 0xf1ff
	v_cndmask_b32_e64 v1, v10, v1, s0
	v_mul_f64_e32 v[9:10], s[10:11], v[19:20]
	v_cmp_gt_i32_e64 s0, 31, v21
	v_mul_f16_e32 v20, v79, v22
	s_delay_alu instid0(VALU_DEP_4)
	v_and_b32_e32 v19, 7, v1
	v_lshrrev_b32_e32 v1, 2, v1
	s_wait_alu 0xf1ff
	v_cndmask_b32_e64 v7, 0x7c00, v7, s0
	v_cmp_ne_u32_e64 s0, 0, v17
	v_fmac_f16_e32 v20, v76, v3
	v_cmp_eq_u32_e64 s1, 3, v19
	v_mul_f16_e32 v3, v79, v3
	s_wait_alu 0xf1ff
	v_cndmask_b32_e64 v17, 0, 1, s0
	v_cmp_eq_u32_e64 s0, 0x40f, v21
	v_cvt_f32_f16_e32 v20, v20
	v_fma_f16 v3, v76, v22, -v3
	s_delay_alu instid0(VALU_DEP_4)
	v_and_or_b32 v17, 0xffe, v24, v17
	s_wait_alu 0xf1ff
	v_cndmask_b32_e64 v7, v7, v15, s0
	v_cmp_lt_i32_e64 s0, 5, v19
	v_cvt_f64_f32_e32 v[19:20], v20
	v_sub_nc_u32_e32 v15, 0x3f1, v25
	v_or_b32_e32 v21, 0x1000, v17
	v_and_or_b32 v7, 0x8000, v12, v7
	s_or_b32 s0, s1, s0
	v_cvt_f32_f16_e32 v3, v3
	s_wait_alu 0xfffe
	v_add_co_ci_u32_e64 v1, s0, 0, v1, s0
	v_med3_i32 v15, v15, 0, 13
	v_cmp_ne_u32_e64 s0, 0, v11
	v_add_nc_u32_e32 v25, 0xfffffc10, v25
	v_and_b32_e32 v7, 0xffff, v7
	s_delay_alu instid0(VALU_DEP_4) | instskip(SKIP_3) | instid1(VALU_DEP_3)
	v_lshrrev_b32_e32 v24, v15, v21
	s_wait_alu 0xf1ff
	v_cndmask_b32_e64 v11, 0, 1, s0
	v_cmp_gt_i32_e64 s0, 31, v5
	v_lshlrev_b32_e32 v12, v15, v24
	s_delay_alu instid0(VALU_DEP_3) | instskip(SKIP_1) | instid1(VALU_DEP_3)
	v_lshl_or_b32 v11, v11, 9, 0x7c00
	s_wait_alu 0xf1ff
	v_cndmask_b32_e64 v1, 0x7c00, v1, s0
	v_cmp_eq_u32_e64 s0, 0x40f, v5
	v_and_or_b32 v9, 0x1ff, v10, v9
	v_lshrrev_b32_e32 v5, 16, v16
	v_lshrrev_b32_e32 v16, 8, v10
	s_wait_alu 0xf1ff
	v_cndmask_b32_e64 v1, v1, v11, s0
	v_cmp_ne_u32_e64 s0, v12, v21
	v_bfe_u32 v21, v10, 20, 11
	v_cvt_f64_f32_e32 v[11:12], v3
	v_lshrrev_b32_e32 v10, 16, v10
	v_and_or_b32 v1, 0x8000, v5, v1
	s_wait_alu 0xf1ff
	v_cndmask_b32_e64 v15, 0, 1, s0
	v_cmp_ne_u32_e64 s0, 0, v9
	v_lshl_or_b32 v5, v25, 12, v17
	v_add_nc_u32_e32 v26, 0xfffffc10, v21
	v_lshl_or_b32 v1, v1, 16, v7
	v_or_b32_e32 v3, v24, v15
	s_wait_alu 0xf1ff
	v_cndmask_b32_e64 v9, 0, 1, s0
	v_sub_nc_u32_e32 v15, 0x3f1, v21
	v_cmp_gt_i32_e64 s0, 1, v25
	s_delay_alu instid0(VALU_DEP_3) | instskip(NEXT) | instid1(VALU_DEP_3)
	v_and_or_b32 v9, 0xffe, v16, v9
	v_med3_i32 v22, v15, 0, 13
	v_mul_f64_e32 v[15:16], s[10:11], v[19:20]
	s_wait_alu 0xf1ff
	v_cndmask_b32_e64 v3, v5, v3, s0
	v_add_co_u32 v13, s0, v13, s4
	v_or_b32_e32 v5, 0x1000, v9
	s_wait_alu 0xf1ff
	v_add_co_ci_u32_e64 v14, s0, s5, v14, s0
	v_and_b32_e32 v7, 7, v3
	v_add_co_u32 v19, s0, v13, s6
	v_lshrrev_b32_e32 v24, v22, v5
	s_wait_alu 0xf1ff
	v_add_co_ci_u32_e64 v20, s0, s7, v14, s0
	v_cmp_lt_i32_e64 s0, 5, v7
	v_cmp_eq_u32_e64 s1, 3, v7
	v_lshlrev_b32_e32 v22, v22, v24
	v_lshrrev_b32_e32 v7, 16, v6
	v_lshrrev_b32_e32 v3, 2, v3
	global_store_b32 v[13:14], v23, off
	global_store_b32 v[19:20], v1, off
	s_or_b32 s0, s1, s0
	v_cmp_ne_u32_e64 s2, v22, v5
	v_mul_f16_e32 v21, v77, v7
	s_wait_alu 0xfffe
	v_add_co_ci_u32_e64 v3, s0, 0, v3, s0
	v_cmp_ne_u32_e64 s0, 0, v17
	s_wait_alu 0xf1ff
	v_cndmask_b32_e64 v5, 0, 1, s2
	v_fmac_f16_e32 v21, v75, v6
	v_mul_f64_e32 v[11:12], s[10:11], v[11:12]
	v_lshl_or_b32 v22, v26, 12, v9
	v_cndmask_b32_e64 v17, 0, 1, s0
	v_or_b32_e32 v5, v24, v5
	v_cmp_gt_i32_e64 s0, 1, v26
	v_cvt_f32_f16_e32 v21, v21
	v_mul_f16_e32 v6, v77, v6
	v_lshl_or_b32 v17, v17, 9, 0x7c00
	v_lshrrev_b32_e32 v23, 16, v2
	s_wait_alu 0xf1ff
	v_cndmask_b32_e64 v5, v22, v5, s0
	v_cmp_gt_i32_e64 s0, 31, v25
	v_and_or_b32 v15, 0x1ff, v16, v15
	v_cvt_f64_f32_e32 v[21:22], v21
	v_fma_f16 v6, v75, v7, -v6
	v_and_b32_e32 v24, 7, v5
	s_wait_alu 0xf1ff
	v_cndmask_b32_e64 v3, 0x7c00, v3, s0
	v_cmp_eq_u32_e64 s0, 0x40f, v25
	v_cmp_ne_u32_e64 s1, 0, v15
	v_lshrrev_b32_e32 v5, 2, v5
	v_mul_f16_e32 v14, v74, v23
	s_wait_alu 0xf1ff
	v_cndmask_b32_e64 v3, v3, v17, s0
	v_cmp_lt_i32_e64 s0, 5, v24
	v_cndmask_b32_e64 v15, 0, 1, s1
	v_cmp_eq_u32_e64 s1, 3, v24
	v_lshrrev_b32_e32 v17, 16, v18
	v_lshrrev_b32_e32 v18, 8, v16
	v_bfe_u32 v24, v16, 20, 11
	v_fmac_f16_e32 v14, v73, v2
	s_or_b32 s0, s1, s0
	v_and_or_b32 v3, 0x8000, v17, v3
	s_wait_alu 0xfffe
	v_add_co_ci_u32_e64 v5, s0, 0, v5, s0
	v_cmp_ne_u32_e64 s0, 0, v9
	v_and_or_b32 v15, 0xffe, v18, v15
	v_sub_nc_u32_e32 v17, 0x3f1, v24
	v_add_nc_u32_e32 v24, 0xfffffc10, v24
	v_and_b32_e32 v3, 0xffff, v3
	s_wait_alu 0xf1ff
	v_cndmask_b32_e64 v9, 0, 1, s0
	v_cmp_gt_i32_e64 s0, 31, v26
	v_or_b32_e32 v25, 0x1000, v15
	v_med3_i32 v17, v17, 0, 13
	v_and_or_b32 v11, 0x1ff, v12, v11
	v_lshl_or_b32 v9, v9, 9, 0x7c00
	s_wait_alu 0xf1ff
	v_cndmask_b32_e64 v5, 0x7c00, v5, s0
	v_cmp_eq_u32_e64 s0, 0x40f, v26
	v_lshrrev_b32_e32 v7, v17, v25
	v_lshrrev_b32_e32 v27, 8, v12
	v_cvt_f32_f16_e32 v14, v14
	v_cmp_eq_u32_e64 s2, 0x40f, v24
	s_wait_alu 0xf1ff
	v_cndmask_b32_e64 v9, v5, v9, s0
	v_cvt_f32_f16_e32 v5, v6
	v_lshlrev_b32_e32 v26, v17, v7
	v_cmp_ne_u32_e64 s0, 0, v11
	v_mul_f64_e32 v[17:18], s[10:11], v[21:22]
	v_bfe_u32 v21, v12, 20, 11
	v_cvt_f64_f32_e32 v[5:6], v5
	v_and_or_b32 v9, 0x8000, v10, v9
	s_wait_alu 0xf1ff
	v_cndmask_b32_e64 v11, 0, 1, s0
	v_cmp_ne_u32_e64 s0, v26, v25
	v_sub_nc_u32_e32 v25, 0x3f1, v21
	v_mul_f16_e32 v2, v74, v2
	v_lshl_or_b32 v3, v9, 16, v3
	v_and_or_b32 v11, 0xffe, v27, v11
	s_wait_alu 0xf1ff
	v_cndmask_b32_e64 v22, 0, 1, s0
	v_med3_i32 v25, v25, 0, 13
	v_cmp_gt_i32_e64 s0, 1, v24
	v_lshrrev_b32_e32 v12, 16, v12
	v_or_b32_e32 v26, 0x1000, v11
	v_or_b32_e32 v7, v7, v22
	v_lshl_or_b32 v22, v24, 12, v15
	s_wait_alu 0xf1ff
	s_delay_alu instid0(VALU_DEP_1) | instskip(SKIP_4) | instid1(VALU_DEP_3)
	v_cndmask_b32_e64 v7, v22, v7, s0
	v_lshrrev_b32_e32 v22, v25, v26
	v_add_co_u32 v9, s0, v19, s6
	s_wait_alu 0xf1ff
	v_add_co_ci_u32_e64 v10, s0, s7, v20, s0
	v_lshlrev_b32_e32 v13, v25, v22
	v_and_b32_e32 v1, 7, v7
	v_add_nc_u32_e32 v19, 0xfffffc10, v21
	global_store_b32 v[9:10], v3, off
	v_cmp_ne_u32_e64 s1, v13, v26
	v_cmp_lt_i32_e64 s0, 5, v1
	s_wait_alu 0xf1ff
	s_delay_alu instid0(VALU_DEP_2)
	v_cndmask_b32_e64 v13, 0, 1, s1
	v_cmp_eq_u32_e64 s1, 3, v1
	v_lshrrev_b32_e32 v1, 2, v7
	v_mul_f64_e32 v[5:6], s[10:11], v[5:6]
	v_and_or_b32 v17, 0x1ff, v18, v17
	v_or_b32_e32 v7, v22, v13
	s_or_b32 s0, s1, s0
	v_lshl_or_b32 v13, v19, 12, v11
	s_wait_alu 0xfffe
	v_add_co_ci_u32_e64 v1, s0, 0, v1, s0
	v_cmp_gt_i32_e64 s0, 1, v19
	v_lshrrev_b32_e32 v20, 8, v18
	v_bfe_u32 v21, v18, 20, 11
	v_lshrrev_b32_e32 v18, 16, v18
	s_wait_alu 0xf1ff
	v_cndmask_b32_e64 v7, v13, v7, s0
	v_cmp_ne_u32_e64 s0, 0, v17
	v_cvt_f64_f32_e32 v[13:14], v14
	s_delay_alu instid0(VALU_DEP_3) | instskip(SKIP_1) | instid1(VALU_DEP_3)
	v_and_b32_e32 v22, 7, v7
	s_wait_alu 0xf1ff
	v_cndmask_b32_e64 v17, 0, 1, s0
	v_cmp_ne_u32_e64 s0, 0, v15
	v_lshrrev_b32_e32 v7, 2, v7
	v_cmp_eq_u32_e64 s1, 3, v22
	s_delay_alu instid0(VALU_DEP_4)
	v_and_or_b32 v17, 0xffe, v20, v17
	v_sub_nc_u32_e32 v20, 0x3f1, v21
	s_wait_alu 0xf1ff
	v_cndmask_b32_e64 v15, 0, 1, s0
	v_cmp_gt_i32_e64 s0, 31, v24
	v_or_b32_e32 v25, 0x1000, v17
	v_med3_i32 v20, v20, 0, 13
	s_delay_alu instid0(VALU_DEP_4) | instskip(SKIP_4) | instid1(VALU_DEP_3)
	v_lshl_or_b32 v15, v15, 9, 0x7c00
	s_wait_alu 0xf1ff
	v_cndmask_b32_e64 v1, 0x7c00, v1, s0
	v_cmp_lt_i32_e64 s0, 5, v22
	v_lshrrev_b32_e32 v22, v20, v25
	v_cndmask_b32_e64 v15, v1, v15, s2
	s_delay_alu instid0(VALU_DEP_3)
	s_or_b32 s0, s1, s0
	v_lshrrev_b32_e32 v24, 8, v6
	s_wait_alu 0xfffe
	v_add_co_ci_u32_e64 v1, s0, 0, v7, s0
	v_lshrrev_b32_e32 v7, 16, v16
	v_lshlrev_b32_e32 v16, v20, v22
	v_cmp_gt_i32_e64 s0, 31, v19
	s_delay_alu instid0(VALU_DEP_3) | instskip(SKIP_1) | instid1(VALU_DEP_2)
	v_and_or_b32 v7, 0x8000, v7, v15
	s_wait_alu 0xf1ff
	v_cndmask_b32_e64 v20, 0x7c00, v1, s0
	v_fma_f16 v1, v73, v23, -v2
	v_and_or_b32 v2, 0x1ff, v6, v5
	v_cmp_ne_u32_e64 s0, v16, v25
	v_add_nc_u32_e32 v16, 0xfffffc10, v21
	v_bfe_u32 v25, v6, 20, 11
	v_cvt_f32_f16_e32 v21, v1
	s_wait_alu 0xf1ff
	v_cndmask_b32_e64 v5, 0, 1, s0
	v_cmp_ne_u32_e64 s0, 0, v2
	v_mul_f64_e32 v[1:2], s[10:11], v[13:14]
	v_cvt_f64_f32_e32 v[13:14], v21
	s_delay_alu instid0(VALU_DEP_4) | instskip(SKIP_4) | instid1(VALU_DEP_3)
	v_or_b32_e32 v5, v22, v5
	s_wait_alu 0xf1ff
	v_cndmask_b32_e64 v23, 0, 1, s0
	v_cmp_ne_u32_e64 s0, 0, v11
	v_lshl_or_b32 v22, v16, 12, v17
	v_and_or_b32 v21, 0xffe, v24, v23
	s_wait_alu 0xf1ff
	s_delay_alu instid0(VALU_DEP_3) | instskip(SKIP_3) | instid1(VALU_DEP_4)
	v_cndmask_b32_e64 v11, 0, 1, s0
	v_sub_nc_u32_e32 v23, 0x3f1, v25
	v_cmp_gt_i32_e64 s0, 1, v16
	v_or_b32_e32 v24, 0x1000, v21
	v_lshl_or_b32 v11, v11, 9, 0x7c00
	s_delay_alu instid0(VALU_DEP_4) | instskip(SKIP_3) | instid1(VALU_DEP_3)
	v_med3_i32 v23, v23, 0, 13
	s_wait_alu 0xf1ff
	v_cndmask_b32_e64 v5, v22, v5, s0
	v_cmp_eq_u32_e64 s0, 0x40f, v19
	v_lshrrev_b32_e32 v19, v23, v24
	s_delay_alu instid0(VALU_DEP_3) | instskip(SKIP_1) | instid1(VALU_DEP_3)
	v_and_b32_e32 v15, 7, v5
	s_wait_alu 0xf1ff
	v_cndmask_b32_e64 v11, v20, v11, s0
	v_lshrrev_b32_e32 v5, 2, v5
	v_and_b32_e32 v20, 0xffff, v7
	v_cmp_lt_i32_e64 s0, 5, v15
	s_delay_alu instid0(VALU_DEP_4) | instskip(SKIP_3) | instid1(VALU_DEP_4)
	v_and_or_b32 v3, 0x8000, v12, v11
	v_lshlrev_b32_e32 v11, v23, v19
	v_cmp_eq_u32_e64 s1, 3, v15
	v_add_nc_u32_e32 v15, 0xfffffc10, v25
	v_lshl_or_b32 v20, v3, 16, v20
	s_delay_alu instid0(VALU_DEP_4) | instskip(NEXT) | instid1(VALU_DEP_4)
	v_cmp_ne_u32_e64 s2, v11, v24
	s_or_b32 s0, s1, s0
	s_delay_alu instid0(VALU_DEP_3)
	v_lshl_or_b32 v11, v15, 12, v21
	s_wait_alu 0xfffe
	v_add_co_ci_u32_e64 v5, s0, 0, v5, s0
	v_cndmask_b32_e64 v7, 0, 1, s2
	v_cmp_ne_u32_e64 s0, 0, v17
	v_and_or_b32 v1, 0x1ff, v2, v1
	v_lshrrev_b32_e32 v22, 8, v2
	v_bfe_u32 v23, v2, 20, 11
	v_or_b32_e32 v7, v19, v7
	s_wait_alu 0xf1ff
	v_cndmask_b32_e64 v17, 0, 1, s0
	v_cmp_gt_i32_e64 s0, 1, v15
	v_lshrrev_b32_e32 v19, 16, v8
	v_cmp_eq_u32_e64 s2, 0x40f, v16
	v_lshrrev_b32_e32 v2, 16, v2
	v_lshl_or_b32 v17, v17, 9, 0x7c00
	s_wait_alu 0xf1ff
	v_cndmask_b32_e64 v7, v11, v7, s0
	v_mul_f64_e32 v[11:12], s[10:11], v[13:14]
	v_mul_f16_e32 v13, v72, v19
	v_cmp_gt_i32_e64 s0, 31, v16
	s_delay_alu instid0(VALU_DEP_4) | instskip(SKIP_1) | instid1(VALU_DEP_4)
	v_and_b32_e32 v14, 7, v7
	v_lshrrev_b32_e32 v7, 2, v7
	v_fmac_f16_e32 v13, v71, v8
	s_wait_alu 0xf1ff
	v_cndmask_b32_e64 v5, 0x7c00, v5, s0
	v_cmp_ne_u32_e64 s0, 0, v1
	v_cmp_eq_u32_e64 s1, 3, v14
	v_mul_f16_e32 v8, v72, v8
	v_cvt_f32_f16_e32 v13, v13
	v_cndmask_b32_e64 v5, v5, v17, s2
	s_wait_alu 0xf1ff
	v_cndmask_b32_e64 v1, 0, 1, s0
	v_cmp_lt_i32_e64 s0, 5, v14
	v_cvt_f64_f32_e32 v[13:14], v13
	v_and_or_b32 v18, 0x8000, v18, v5
	s_delay_alu instid0(VALU_DEP_4) | instskip(NEXT) | instid1(VALU_DEP_4)
	v_and_or_b32 v1, 0xffe, v22, v1
	s_or_b32 s0, s1, s0
	v_sub_nc_u32_e32 v22, 0x3f1, v23
	s_wait_alu 0xfffe
	v_add_co_ci_u32_e64 v7, s0, 0, v7, s0
	v_cmp_ne_u32_e64 s0, 0, v21
	v_or_b32_e32 v16, 0x1000, v1
	v_med3_i32 v17, v22, 0, 13
	s_wait_alu 0xf1ff
	s_delay_alu instid0(VALU_DEP_3) | instskip(SKIP_1) | instid1(VALU_DEP_3)
	v_cndmask_b32_e64 v21, 0, 1, s0
	v_cmp_gt_i32_e64 s0, 31, v15
	v_lshrrev_b32_e32 v22, v17, v16
	s_delay_alu instid0(VALU_DEP_3) | instskip(SKIP_1) | instid1(VALU_DEP_3)
	v_lshl_or_b32 v21, v21, 9, 0x7c00
	s_wait_alu 0xf1ff
	v_cndmask_b32_e64 v7, 0x7c00, v7, s0
	v_cmp_eq_u32_e64 s0, 0x40f, v15
	v_lshlrev_b32_e32 v5, v17, v22
	v_lshrrev_b32_e32 v17, 8, v12
	s_wait_alu 0xf1ff
	s_delay_alu instid0(VALU_DEP_3)
	v_cndmask_b32_e64 v15, v7, v21, s0
	v_fma_f16 v7, v71, v19, -v8
	v_and_or_b32 v8, 0x1ff, v12, v11
	v_cmp_ne_u32_e64 s0, v5, v16
	v_add_nc_u32_e32 v11, 0xfffffc10, v23
	v_bfe_u32 v19, v12, 20, 11
	v_cvt_f32_f16_e32 v7, v7
	v_lshrrev_b32_e32 v23, 16, v0
	s_wait_alu 0xf1ff
	v_cndmask_b32_e64 v5, 0, 1, s0
	v_cmp_ne_u32_e64 s0, 0, v8
	v_lshl_or_b32 v21, v11, 12, v1
	v_cvt_f64_f32_e32 v[7:8], v7
	v_lshrrev_b32_e32 v12, 16, v12
	v_or_b32_e32 v5, v22, v5
	s_wait_alu 0xf1ff
	v_cndmask_b32_e64 v16, 0, 1, s0
	v_cmp_gt_i32_e64 s0, 1, v11
	v_lshrrev_b32_e32 v22, 16, v6
	s_delay_alu instid0(VALU_DEP_3)
	v_and_or_b32 v17, 0xffe, v17, v16
	v_sub_nc_u32_e32 v16, 0x3f1, v19
	s_wait_alu 0xf1ff
	v_cndmask_b32_e64 v21, v21, v5, s0
	v_mul_f64_e32 v[5:6], s[10:11], v[13:14]
	v_and_or_b32 v3, 0x8000, v22, v15
	v_or_b32_e32 v13, 0x1000, v17
	v_med3_i32 v14, v16, 0, 13
	v_and_b32_e32 v15, 0xffff, v18
	v_and_b32_e32 v16, 7, v21
	v_add_co_u32 v9, s0, v9, s6
	s_delay_alu instid0(VALU_DEP_4) | instskip(NEXT) | instid1(VALU_DEP_4)
	v_lshrrev_b32_e32 v18, v14, v13
	v_lshl_or_b32 v22, v3, 16, v15
	s_wait_alu 0xf1ff
	v_add_co_ci_u32_e64 v10, s0, s7, v10, s0
	v_cmp_lt_i32_e64 s0, 5, v16
	v_lshlrev_b32_e32 v3, v14, v18
	v_cmp_eq_u32_e64 s1, 3, v16
	v_lshrrev_b32_e32 v14, 2, v21
	v_add_nc_u32_e32 v19, 0xfffffc10, v19
	s_delay_alu instid0(VALU_DEP_4) | instskip(NEXT) | instid1(VALU_DEP_4)
	v_cmp_ne_u32_e64 s2, v3, v13
	s_or_b32 s0, s1, s0
	v_mul_f16_e32 v13, v70, v23
	s_wait_alu 0xfffe
	v_add_co_ci_u32_e64 v14, s0, 0, v14, s0
	v_cndmask_b32_e64 v3, 0, 1, s2
	v_cmp_ne_u32_e64 s0, 0, v1
	v_lshl_or_b32 v15, v19, 12, v17
	v_fmac_f16_e32 v13, v69, v0
	v_mul_f64_e32 v[7:8], s[10:11], v[7:8]
	v_or_b32_e32 v3, v18, v3
	s_wait_alu 0xf1ff
	v_cndmask_b32_e64 v1, 0, 1, s0
	v_cmp_gt_i32_e64 s0, 1, v19
	v_cvt_f32_f16_e32 v13, v13
	s_delay_alu instid0(VALU_DEP_3) | instskip(SKIP_1) | instid1(VALU_DEP_3)
	v_lshl_or_b32 v1, v1, 9, 0x7c00
	s_wait_alu 0xf1ff
	v_cndmask_b32_e64 v3, v15, v3, s0
	v_cmp_gt_i32_e64 s0, 31, v11
	v_and_or_b32 v5, 0x1ff, v6, v5
	s_delay_alu instid0(VALU_DEP_3) | instskip(SKIP_1) | instid1(VALU_DEP_3)
	v_and_b32_e32 v21, 7, v3
	s_wait_alu 0xf1ff
	v_cndmask_b32_e64 v18, 0x7c00, v14, s0
	v_cvt_f64_f32_e32 v[13:14], v13
	v_add_co_u32 v15, s0, v9, s6
	s_wait_alu 0xf1ff
	v_add_co_ci_u32_e64 v16, s0, s7, v10, s0
	v_cmp_eq_u32_e64 s0, 0x40f, v11
	v_cmp_ne_u32_e64 s1, 0, v5
	v_lshrrev_b32_e32 v3, 2, v3
	v_lshrrev_b32_e32 v11, 8, v6
	global_store_b32 v[9:10], v20, off
	global_store_b32 v[15:16], v22, off
	s_wait_alu 0xf1ff
	v_cndmask_b32_e64 v1, v18, v1, s0
	v_cmp_lt_i32_e64 s0, 5, v21
	v_cndmask_b32_e64 v5, 0, 1, s1
	v_cmp_eq_u32_e64 s1, 3, v21
	v_bfe_u32 v18, v6, 20, 11
	v_and_or_b32 v24, 0x8000, v2, v1
	v_lshrrev_b32_e32 v6, 16, v6
	v_and_or_b32 v5, 0xffe, v11, v5
	s_or_b32 s0, s1, s0
	v_sub_nc_u32_e32 v11, 0x3f1, v18
	s_wait_alu 0xfffe
	v_add_co_ci_u32_e64 v3, s0, 0, v3, s0
	v_cmp_ne_u32_e64 s0, 0, v17
	v_or_b32_e32 v21, 0x1000, v5
	v_med3_i32 v11, v11, 0, 13
	v_and_or_b32 v1, 0x1ff, v8, v7
	v_bfe_u32 v25, v8, 20, 11
	s_wait_alu 0xf1ff
	v_cndmask_b32_e64 v17, 0, 1, s0
	v_cmp_gt_i32_e64 s0, 31, v19
	v_lshrrev_b32_e32 v2, v11, v21
	s_delay_alu instid0(VALU_DEP_3) | instskip(SKIP_1) | instid1(VALU_DEP_3)
	v_lshl_or_b32 v17, v17, 9, 0x7c00
	s_wait_alu 0xf1ff
	v_cndmask_b32_e64 v3, 0x7c00, v3, s0
	v_cmp_eq_u32_e64 s0, 0x40f, v19
	v_lshrrev_b32_e32 v19, 8, v8
	v_lshrrev_b32_e32 v8, 16, v8
	s_wait_alu 0xf1ff
	s_delay_alu instid0(VALU_DEP_3)
	v_cndmask_b32_e64 v7, v3, v17, s0
	v_lshlrev_b32_e32 v3, v11, v2
	v_cmp_ne_u32_e64 s0, 0, v1
	v_mul_f16_e32 v11, v70, v0
	v_mul_f64_e32 v[0:1], s[10:11], v[13:14]
	v_add_nc_u32_e32 v13, 0xfffffc10, v18
	v_and_or_b32 v7, 0x8000, v12, v7
	s_wait_alu 0xf1ff
	v_cndmask_b32_e64 v17, 0, 1, s0
	v_cmp_ne_u32_e64 s0, v3, v21
	v_fma_f16 v11, v69, v23, -v11
	v_cmp_eq_u32_e64 s2, 0x40f, v13
	s_delay_alu instid0(VALU_DEP_4)
	v_and_or_b32 v14, 0xffe, v19, v17
	s_wait_alu 0xf1ff
	v_cndmask_b32_e64 v3, 0, 1, s0
	v_sub_nc_u32_e32 v17, 0x3f1, v25
	v_cvt_f32_f16_e32 v11, v11
	v_lshl_or_b32 v19, v13, 12, v5
	v_or_b32_e32 v21, 0x1000, v14
	v_or_b32_e32 v18, v2, v3
	v_med3_i32 v17, v17, 0, 13
	v_cmp_gt_i32_e64 s0, 1, v13
	v_cvt_f64_f32_e32 v[2:3], v11
	v_and_b32_e32 v11, 0xffff, v24
	s_wait_alu 0xf1ff
	s_delay_alu instid0(VALU_DEP_3) | instskip(SKIP_1) | instid1(VALU_DEP_3)
	v_cndmask_b32_e64 v12, v19, v18, s0
	v_lshrrev_b32_e32 v18, v17, v21
	v_lshl_or_b32 v19, v7, 16, v11
	v_add_co_u32 v9, s0, v15, s4
	s_delay_alu instid0(VALU_DEP_4) | instskip(NEXT) | instid1(VALU_DEP_4)
	v_and_b32_e32 v7, 7, v12
	v_lshlrev_b32_e32 v11, v17, v18
	s_wait_alu 0xf1ff
	v_add_co_ci_u32_e64 v10, s0, s5, v16, s0
	v_lshrrev_b32_e32 v15, 16, v4
	v_cmp_lt_i32_e64 s0, 5, v7
	v_cmp_ne_u32_e64 s1, v11, v21
	v_add_nc_u32_e32 v16, 0xfffffc10, v25
	s_delay_alu instid0(VALU_DEP_4) | instskip(SKIP_1) | instid1(VALU_DEP_3)
	v_mul_f16_e32 v17, v68, v15
	s_wait_alu 0xf1ff
	v_cndmask_b32_e64 v11, 0, 1, s1
	v_cmp_eq_u32_e64 s1, 3, v7
	v_lshrrev_b32_e32 v7, 2, v12
	v_lshl_or_b32 v12, v16, 12, v14
	v_and_or_b32 v0, 0x1ff, v1, v0
	v_or_b32_e32 v11, v18, v11
	s_or_b32 s0, s1, s0
	v_fmac_f16_e32 v17, v66, v4
	s_wait_alu 0xfffe
	v_add_co_ci_u32_e64 v7, s0, 0, v7, s0
	v_cmp_gt_i32_e64 s0, 1, v16
	v_lshrrev_b32_e32 v20, 8, v1
	v_cvt_f32_f16_e32 v17, v17
	s_wait_alu 0xf1ff
	s_delay_alu instid0(VALU_DEP_3) | instskip(SKIP_1) | instid1(VALU_DEP_3)
	v_cndmask_b32_e64 v18, v12, v11, s0
	v_cmp_ne_u32_e64 s0, 0, v0
	v_cvt_f64_f32_e32 v[11:12], v17
	v_bfe_u32 v17, v1, 20, 11
	v_mul_f64_e32 v[2:3], s[10:11], v[2:3]
	v_and_b32_e32 v21, 7, v18
	s_wait_alu 0xf1ff
	v_cndmask_b32_e64 v0, 0, 1, s0
	v_cmp_ne_u32_e64 s0, 0, v5
	v_lshrrev_b32_e32 v18, 2, v18
	v_lshrrev_b32_e32 v1, 16, v1
	v_cmp_eq_u32_e64 s1, 3, v21
	v_and_or_b32 v0, 0xffe, v20, v0
	s_wait_alu 0xf1ff
	v_cndmask_b32_e64 v5, 0, 1, s0
	v_cmp_gt_i32_e64 s0, 31, v13
	v_sub_nc_u32_e32 v20, 0x3f1, v17
	v_or_b32_e32 v22, 0x1000, v0
	s_delay_alu instid0(VALU_DEP_4) | instskip(SKIP_4) | instid1(VALU_DEP_3)
	v_lshl_or_b32 v5, v5, 9, 0x7c00
	s_wait_alu 0xf1ff
	v_cndmask_b32_e64 v7, 0x7c00, v7, s0
	v_cmp_lt_i32_e64 s0, 5, v21
	v_med3_i32 v20, v20, 0, 13
	v_cndmask_b32_e64 v5, v7, v5, s2
	s_delay_alu instid0(VALU_DEP_3) | instskip(NEXT) | instid1(VALU_DEP_2)
	s_or_b32 s0, s1, s0
	v_lshrrev_b32_e32 v7, v20, v22
	s_wait_alu 0xfffe
	v_add_co_ci_u32_e64 v13, s0, 0, v18, s0
	v_cmp_ne_u32_e64 s0, 0, v14
	s_delay_alu instid0(VALU_DEP_3) | instskip(SKIP_2) | instid1(VALU_DEP_3)
	v_lshlrev_b32_e32 v18, v20, v7
	v_and_or_b32 v20, 0x8000, v6, v5
	s_wait_alu 0xf1ff
	v_cndmask_b32_e64 v14, 0, 1, s0
	v_cmp_gt_i32_e64 s0, 31, v16
	s_delay_alu instid0(VALU_DEP_2) | instskip(SKIP_1) | instid1(VALU_DEP_2)
	v_lshl_or_b32 v14, v14, 9, 0x7c00
	s_wait_alu 0xf1ff
	v_cndmask_b32_e64 v13, 0x7c00, v13, s0
	v_cmp_ne_u32_e64 s0, v18, v22
	v_and_b32_e32 v18, 0xffff, v20
	v_and_or_b32 v2, 0x1ff, v3, v2
	s_wait_alu 0xf1ff
	s_delay_alu instid0(VALU_DEP_3) | instskip(SKIP_2) | instid1(VALU_DEP_3)
	v_cndmask_b32_e64 v5, 0, 1, s0
	v_cmp_eq_u32_e64 s0, 0x40f, v16
	v_add_nc_u32_e32 v16, 0xfffffc10, v17
	v_or_b32_e32 v7, v7, v5
	s_wait_alu 0xf1ff
	s_delay_alu instid0(VALU_DEP_3)
	v_cndmask_b32_e64 v6, v13, v14, s0
	ds_load_b32 v13, v64 offset:7400
	v_mul_f16_e32 v14, v68, v4
	v_mul_f64_e32 v[4:5], s[10:11], v[11:12]
	v_lshl_or_b32 v11, v16, 12, v0
	v_cmp_gt_i32_e64 s0, 1, v16
	v_and_or_b32 v8, 0x8000, v8, v6
	v_fma_f16 v12, v66, v15, -v14
	v_bfe_u32 v14, v3, 20, 11
	s_wait_alu 0xf1ff
	v_cndmask_b32_e64 v11, v11, v7, s0
	v_cmp_ne_u32_e64 s0, 0, v2
	v_cvt_f32_f16_e32 v7, v12
	v_lshrrev_b32_e32 v12, 8, v3
	v_lshl_or_b32 v8, v8, 16, v18
	v_and_b32_e32 v15, 7, v11
	s_wait_alu 0xf1ff
	v_cndmask_b32_e64 v2, 0, 1, s0
	v_cvt_f64_f32_e32 v[6:7], v7
	v_lshrrev_b32_e32 v11, 2, v11
	v_cmp_lt_i32_e64 s0, 5, v15
	s_delay_alu instid0(VALU_DEP_4)
	v_and_or_b32 v2, 0xffe, v12, v2
	v_sub_nc_u32_e32 v12, 0x3f1, v14
	s_wait_dscnt 0x0
	v_lshrrev_b32_e32 v17, 16, v13
	v_cmp_eq_u32_e64 s1, 3, v15
	v_or_b32_e32 v20, 0x1000, v2
	v_med3_i32 v12, v12, 0, 13
	s_delay_alu instid0(VALU_DEP_4) | instskip(NEXT) | instid1(VALU_DEP_4)
	v_mul_f16_e32 v21, v67, v17
	s_or_b32 s0, s1, s0
	s_wait_alu 0xfffe
	v_add_co_ci_u32_e64 v11, s0, 0, v11, s0
	v_lshrrev_b32_e32 v15, v12, v20
	v_fmac_f16_e32 v21, v65, v13
	v_cmp_ne_u32_e64 s0, 0, v0
	v_mul_f16_e32 v13, v67, v13
	s_delay_alu instid0(VALU_DEP_4) | instskip(NEXT) | instid1(VALU_DEP_4)
	v_lshlrev_b32_e32 v18, v12, v15
	v_cvt_f32_f16_e32 v12, v21
	s_wait_alu 0xf1ff
	v_cndmask_b32_e64 v0, 0, 1, s0
	v_cmp_gt_i32_e64 s0, 31, v16
	v_and_or_b32 v4, 0x1ff, v5, v4
	v_fma_f16 v13, v65, v17, -v13
	s_delay_alu instid0(VALU_DEP_4)
	v_lshl_or_b32 v0, v0, 9, 0x7c00
	s_wait_alu 0xf1ff
	v_cndmask_b32_e64 v21, 0x7c00, v11, s0
	v_cvt_f64_f32_e32 v[11:12], v12
	v_cmp_ne_u32_e64 s0, v18, v20
	v_add_nc_u32_e32 v20, 0xfffffc10, v14
	v_lshrrev_b32_e32 v14, 8, v5
	v_cvt_f32_f16_e32 v13, v13
	s_wait_alu 0xf1ff
	v_cndmask_b32_e64 v18, 0, 1, s0
	v_cmp_ne_u32_e64 s0, 0, v4
	v_lshl_or_b32 v17, v20, 12, v2
	v_mul_f64_e32 v[6:7], s[10:11], v[6:7]
	s_delay_alu instid0(VALU_DEP_4)
	v_or_b32_e32 v15, v15, v18
	s_wait_alu 0xf1ff
	v_cndmask_b32_e64 v4, 0, 1, s0
	v_bfe_u32 v18, v5, 20, 11
	v_cmp_gt_i32_e64 s0, 1, v20
	v_lshrrev_b32_e32 v5, 16, v5
	s_delay_alu instid0(VALU_DEP_4) | instskip(NEXT) | instid1(VALU_DEP_4)
	v_and_or_b32 v4, 0xffe, v14, v4
	v_sub_nc_u32_e32 v14, 0x3f1, v18
	s_wait_alu 0xf1ff
	v_cndmask_b32_e64 v17, v17, v15, s0
	v_cmp_eq_u32_e64 s0, 0x40f, v16
	v_add_nc_u32_e32 v18, 0xfffffc10, v18
	v_or_b32_e32 v22, 0x1000, v4
	v_med3_i32 v23, v14, 0, 13
	v_cvt_f64_f32_e32 v[13:14], v13
	s_wait_alu 0xf1ff
	v_cndmask_b32_e64 v0, v21, v0, s0
	v_and_b32_e32 v21, 7, v17
	v_add_co_u32 v15, s0, v9, s6
	v_lshrrev_b32_e32 v24, v23, v22
	s_wait_alu 0xf1ff
	v_add_co_ci_u32_e64 v16, s0, s7, v10, s0
	v_cmp_lt_i32_e64 s0, 5, v21
	v_cmp_eq_u32_e64 s1, 3, v21
	v_lshrrev_b32_e32 v17, 2, v17
	v_lshlrev_b32_e32 v23, v23, v24
	v_and_or_b32 v25, 0x8000, v1, v0
	s_delay_alu instid0(VALU_DEP_4)
	s_or_b32 s0, s1, s0
	v_mul_f64_e32 v[0:1], s[10:11], v[11:12]
	s_wait_alu 0xfffe
	v_add_co_ci_u32_e64 v11, s0, 0, v17, s0
	v_cmp_ne_u32_e64 s2, v23, v22
	v_cmp_ne_u32_e64 s0, 0, v2
	v_lshl_or_b32 v17, v18, 12, v4
	s_wait_alu 0xf1ff
	s_delay_alu instid0(VALU_DEP_3) | instskip(NEXT) | instid1(VALU_DEP_3)
	v_cndmask_b32_e64 v21, 0, 1, s2
	v_cndmask_b32_e64 v2, 0, 1, s0
	v_cmp_gt_i32_e64 s0, 31, v20
	v_and_or_b32 v6, 0x1ff, v7, v6
	s_delay_alu instid0(VALU_DEP_4) | instskip(NEXT) | instid1(VALU_DEP_4)
	v_or_b32_e32 v12, v24, v21
	v_lshl_or_b32 v2, v2, 9, 0x7c00
	s_wait_alu 0xf1ff
	v_cndmask_b32_e64 v11, 0x7c00, v11, s0
	v_cmp_gt_i32_e64 s0, 1, v18
	v_lshrrev_b32_e32 v21, 8, v7
	s_wait_alu 0xf1ff
	s_delay_alu instid0(VALU_DEP_2) | instskip(SKIP_2) | instid1(VALU_DEP_3)
	v_cndmask_b32_e64 v12, v17, v12, s0
	v_cmp_eq_u32_e64 s0, 0x40f, v20
	v_lshrrev_b32_e32 v17, 16, v3
	v_and_b32_e32 v20, 7, v12
	s_wait_alu 0xf1ff
	s_delay_alu instid0(VALU_DEP_3)
	v_cndmask_b32_e64 v11, v11, v2, s0
	v_cmp_ne_u32_e64 s0, 0, v6
	v_mul_f64_e32 v[2:3], s[10:11], v[13:14]
	v_bfe_u32 v13, v7, 20, 11
	v_cmp_eq_u32_e64 s1, 3, v20
	v_lshrrev_b32_e32 v12, 2, v12
	s_wait_alu 0xf1ff
	v_cndmask_b32_e64 v6, 0, 1, s0
	v_cmp_lt_i32_e64 s0, 5, v20
	v_and_or_b32 v11, 0x8000, v17, v11
	v_and_b32_e32 v14, 0xffff, v25
	v_sub_nc_u32_e32 v17, 0x3f1, v13
	v_and_or_b32 v6, 0xffe, v21, v6
	s_or_b32 s0, s1, s0
	v_and_or_b32 v0, 0x1ff, v1, v0
	s_wait_alu 0xfffe
	v_add_co_ci_u32_e64 v12, s0, 0, v12, s0
	v_lshl_or_b32 v11, v11, 16, v14
	v_or_b32_e32 v14, 0x1000, v6
	v_med3_i32 v17, v17, 0, 13
	v_cmp_ne_u32_e64 s0, 0, v4
	v_lshrrev_b32_e32 v21, 8, v1
	v_bfe_u32 v22, v1, 20, 11
	v_add_nc_u32_e32 v13, 0xfffffc10, v13
	v_lshrrev_b32_e32 v20, v17, v14
	s_wait_alu 0xf1ff
	v_cndmask_b32_e64 v4, 0, 1, s0
	v_cmp_gt_i32_e64 s0, 31, v18
	v_lshrrev_b32_e32 v7, 16, v7
	v_lshrrev_b32_e32 v1, 16, v1
	v_lshlrev_b32_e32 v17, v17, v20
	v_lshl_or_b32 v4, v4, 9, 0x7c00
	s_wait_alu 0xf1ff
	v_cndmask_b32_e64 v12, 0x7c00, v12, s0
	v_cmp_ne_u32_e64 s0, 0, v0
	s_wait_alu 0xf1ff
	s_delay_alu instid0(VALU_DEP_1) | instskip(SKIP_3) | instid1(VALU_DEP_4)
	v_cndmask_b32_e64 v0, 0, 1, s0
	v_cmp_ne_u32_e64 s0, v17, v14
	v_sub_nc_u32_e32 v17, 0x3f1, v22
	v_and_or_b32 v2, 0x1ff, v3, v2
	v_and_or_b32 v0, 0xffe, v21, v0
	s_wait_alu 0xf1ff
	v_cndmask_b32_e64 v14, 0, 1, s0
	v_cmp_eq_u32_e64 s0, 0x40f, v18
	v_med3_i32 v17, v17, 0, 13
	v_bfe_u32 v21, v3, 20, 11
	v_or_b32_e32 v18, 0x1000, v0
	s_wait_alu 0xf1ff
	v_cndmask_b32_e64 v4, v12, v4, s0
	v_or_b32_e32 v12, v20, v14
	v_lshl_or_b32 v14, v13, 12, v6
	v_cmp_gt_i32_e64 s0, 1, v13
	v_lshrrev_b32_e32 v20, 8, v3
	v_and_or_b32 v4, 0x8000, v5, v4
	v_sub_nc_u32_e32 v5, 0x3f1, v21
	s_wait_alu 0xf1ff
	v_cndmask_b32_e64 v12, v14, v12, s0
	v_lshrrev_b32_e32 v14, v17, v18
	v_cmp_ne_u32_e64 s0, 0, v2
	v_med3_i32 v5, v5, 0, 13
	v_and_b32_e32 v4, 0xffff, v4
	v_and_b32_e32 v23, 7, v12
	v_lshlrev_b32_e32 v17, v17, v14
	s_wait_alu 0xf1ff
	v_cndmask_b32_e64 v2, 0, 1, s0
	v_lshrrev_b32_e32 v12, 2, v12
	v_cmp_lt_i32_e64 s0, 5, v23
	v_cmp_ne_u32_e64 s1, v17, v18
	s_delay_alu instid0(VALU_DEP_4) | instskip(SKIP_2) | instid1(VALU_DEP_3)
	v_and_or_b32 v2, 0xffe, v20, v2
	v_add_nc_u32_e32 v20, 0xfffffc10, v22
	s_wait_alu 0xf1ff
	v_cndmask_b32_e64 v17, 0, 1, s1
	v_cmp_eq_u32_e64 s1, 3, v23
	v_or_b32_e32 v18, 0x1000, v2
	v_lshl_or_b32 v22, v20, 12, v0
	s_delay_alu instid0(VALU_DEP_4) | instskip(NEXT) | instid1(VALU_DEP_4)
	v_or_b32_e32 v14, v14, v17
	s_or_b32 s0, s1, s0
	s_delay_alu instid0(VALU_DEP_3) | instskip(SKIP_3) | instid1(VALU_DEP_3)
	v_lshrrev_b32_e32 v17, v5, v18
	s_wait_alu 0xfffe
	v_add_co_ci_u32_e64 v12, s0, 0, v12, s0
	v_cmp_gt_i32_e64 s0, 1, v20
	v_lshlrev_b32_e32 v5, v5, v17
	s_wait_alu 0xf1ff
	s_delay_alu instid0(VALU_DEP_2) | instskip(SKIP_2) | instid1(VALU_DEP_1)
	v_cndmask_b32_e64 v14, v22, v14, s0
	v_cmp_ne_u32_e64 s0, 0, v6
	s_wait_alu 0xf1ff
	v_cndmask_b32_e64 v6, 0, 1, s0
	v_cmp_ne_u32_e64 s0, v5, v18
	v_add_nc_u32_e32 v18, 0xfffffc10, v21
	v_and_b32_e32 v21, 7, v14
	s_delay_alu instid0(VALU_DEP_4)
	v_lshl_or_b32 v6, v6, 9, 0x7c00
	s_wait_alu 0xf1ff
	v_cndmask_b32_e64 v5, 0, 1, s0
	v_cmp_gt_i32_e64 s0, 31, v13
	v_cmp_gt_i32_e64 s2, 1, v18
	v_cmp_eq_u32_e64 s1, 3, v21
	s_delay_alu instid0(VALU_DEP_4) | instskip(SKIP_4) | instid1(VALU_DEP_3)
	v_or_b32_e32 v5, v17, v5
	v_lshl_or_b32 v17, v18, 12, v2
	s_wait_alu 0xf1ff
	v_cndmask_b32_e64 v12, 0x7c00, v12, s0
	v_cmp_lt_i32_e64 s0, 5, v21
	v_cndmask_b32_e64 v5, v17, v5, s2
	v_cmp_eq_u32_e64 s2, 0x40f, v13
	s_delay_alu instid0(VALU_DEP_3) | instskip(NEXT) | instid1(VALU_DEP_2)
	s_or_b32 s0, s1, s0
	v_and_b32_e32 v13, 7, v5
	s_delay_alu instid0(VALU_DEP_2)
	v_cndmask_b32_e64 v6, v12, v6, s2
	v_lshrrev_b32_e32 v12, 2, v14
	v_lshrrev_b32_e32 v5, 2, v5
	v_cmp_gt_i32_e64 s2, 31, v20
	v_cmp_eq_u32_e64 s1, 3, v13
	v_and_or_b32 v6, 0x8000, v7, v6
	s_wait_alu 0xfffe
	v_add_co_ci_u32_e64 v12, s0, 0, v12, s0
	v_cmp_ne_u32_e64 s0, 0, v0
	s_delay_alu instid0(VALU_DEP_3) | instskip(SKIP_1) | instid1(VALU_DEP_3)
	v_lshl_or_b32 v6, v6, 16, v4
	s_wait_alu 0xf1ff
	v_cndmask_b32_e64 v12, 0x7c00, v12, s2
	s_delay_alu instid0(VALU_DEP_3) | instskip(SKIP_1) | instid1(VALU_DEP_2)
	v_cndmask_b32_e64 v0, 0, 1, s0
	v_cmp_lt_i32_e64 s0, 5, v13
	v_lshl_or_b32 v0, v0, 9, 0x7c00
	s_delay_alu instid0(VALU_DEP_2) | instskip(SKIP_4) | instid1(VALU_DEP_1)
	s_or_b32 s0, s1, s0
	s_wait_alu 0xfffe
	v_add_co_ci_u32_e64 v5, s0, 0, v5, s0
	v_cmp_ne_u32_e64 s0, 0, v2
	s_wait_alu 0xf1ff
	v_cndmask_b32_e64 v2, 0, 1, s0
	v_cmp_eq_u32_e64 s0, 0x40f, v20
	s_delay_alu instid0(VALU_DEP_2) | instskip(SKIP_1) | instid1(VALU_DEP_2)
	v_lshl_or_b32 v2, v2, 9, 0x7c00
	s_wait_alu 0xf1ff
	v_cndmask_b32_e64 v0, v12, v0, s0
	v_cmp_gt_i32_e64 s0, 31, v18
	s_delay_alu instid0(VALU_DEP_2) | instskip(SKIP_1) | instid1(VALU_DEP_2)
	v_and_or_b32 v0, 0x8000, v1, v0
	s_wait_alu 0xf1ff
	v_cndmask_b32_e64 v5, 0x7c00, v5, s0
	v_cmp_eq_u32_e64 s0, 0x40f, v18
	s_delay_alu instid0(VALU_DEP_3) | instskip(SKIP_1) | instid1(VALU_DEP_2)
	v_and_b32_e32 v0, 0xffff, v0
	s_wait_alu 0xf1ff
	v_cndmask_b32_e64 v1, v5, v2, s0
	v_lshrrev_b32_e32 v5, 16, v3
	v_add_co_u32 v2, s0, v15, s6
	s_wait_alu 0xf1ff
	v_add_co_ci_u32_e64 v3, s0, s7, v16, s0
	s_delay_alu instid0(VALU_DEP_3) | instskip(NEXT) | instid1(VALU_DEP_3)
	v_and_or_b32 v1, 0x8000, v5, v1
	v_add_co_u32 v4, s0, v2, s6
	s_wait_alu 0xf1ff
	s_delay_alu instid0(VALU_DEP_3) | instskip(NEXT) | instid1(VALU_DEP_3)
	v_add_co_ci_u32_e64 v5, s0, s7, v3, s0
	v_lshl_or_b32 v7, v1, 16, v0
	s_delay_alu instid0(VALU_DEP_3) | instskip(SKIP_1) | instid1(VALU_DEP_3)
	v_add_co_u32 v0, s0, v4, s6
	s_wait_alu 0xf1ff
	v_add_co_ci_u32_e64 v1, s0, s7, v5, s0
	global_store_b32 v[9:10], v19, off
	global_store_b32 v[15:16], v8, off
	;; [unrolled: 1-line block ×5, first 2 shown]
	s_and_b32 exec_lo, exec_lo, vcc_lo
	s_cbranch_execz .LBB0_31
; %bb.30:
	global_load_b32 v2, v[47:48], off offset:1500
	ds_load_b32 v3, v64 offset:1500
	ds_load_b32 v6, v64 offset:3100
	ds_load_b32 v7, v64 offset:4700
	ds_load_b32 v8, v64 offset:6300
	ds_load_b32 v9, v64 offset:7900
	s_wait_dscnt 0x4
	v_lshrrev_b32_e32 v4, 16, v3
	s_wait_loadcnt 0x0
	v_lshrrev_b32_e32 v5, 16, v2
	s_delay_alu instid0(VALU_DEP_1) | instskip(SKIP_1) | instid1(VALU_DEP_2)
	v_mul_f16_e32 v10, v4, v5
	v_mul_f16_e32 v5, v3, v5
	v_fmac_f16_e32 v10, v3, v2
	s_delay_alu instid0(VALU_DEP_2) | instskip(NEXT) | instid1(VALU_DEP_2)
	v_fma_f16 v2, v2, v4, -v5
	v_cvt_f32_f16_e32 v3, v10
	s_delay_alu instid0(VALU_DEP_2) | instskip(NEXT) | instid1(VALU_DEP_2)
	v_cvt_f32_f16_e32 v4, v2
	v_cvt_f64_f32_e32 v[2:3], v3
	s_delay_alu instid0(VALU_DEP_2) | instskip(NEXT) | instid1(VALU_DEP_2)
	v_cvt_f64_f32_e32 v[4:5], v4
	v_mul_f64_e32 v[2:3], s[10:11], v[2:3]
	s_delay_alu instid0(VALU_DEP_2) | instskip(NEXT) | instid1(VALU_DEP_2)
	v_mul_f64_e32 v[4:5], s[10:11], v[4:5]
	v_and_or_b32 v2, 0x1ff, v3, v2
	s_delay_alu instid0(VALU_DEP_2)
	v_and_or_b32 v4, 0x1ff, v5, v4
	v_lshrrev_b32_e32 v10, 8, v3
	v_bfe_u32 v11, v3, 20, 11
	v_lshrrev_b32_e32 v12, 8, v5
	v_cmp_ne_u32_e32 vcc_lo, 0, v2
	v_bfe_u32 v13, v5, 20, 11
	v_lshrrev_b32_e32 v3, 16, v3
	v_sub_nc_u32_e32 v14, 0x3f1, v11
	v_lshrrev_b32_e32 v5, 16, v5
	s_wait_alu 0xfffd
	v_cndmask_b32_e64 v2, 0, 1, vcc_lo
	v_cmp_ne_u32_e32 vcc_lo, 0, v4
	s_delay_alu instid0(VALU_DEP_2) | instskip(SKIP_3) | instid1(VALU_DEP_2)
	v_and_or_b32 v2, 0xffe, v10, v2
	s_wait_alu 0xfffd
	v_cndmask_b32_e64 v4, 0, 1, vcc_lo
	v_sub_nc_u32_e32 v10, 0x3f1, v13
	v_and_or_b32 v4, 0xffe, v12, v4
	v_med3_i32 v12, v14, 0, 13
	v_or_b32_e32 v14, 0x1000, v2
	s_delay_alu instid0(VALU_DEP_4) | instskip(NEXT) | instid1(VALU_DEP_4)
	v_med3_i32 v10, v10, 0, 13
	v_or_b32_e32 v15, 0x1000, v4
	s_delay_alu instid0(VALU_DEP_3) | instskip(NEXT) | instid1(VALU_DEP_2)
	v_lshrrev_b32_e32 v16, v12, v14
	v_lshrrev_b32_e32 v17, v10, v15
	s_delay_alu instid0(VALU_DEP_2) | instskip(NEXT) | instid1(VALU_DEP_2)
	v_lshlrev_b32_e32 v12, v12, v16
	v_lshlrev_b32_e32 v10, v10, v17
	s_delay_alu instid0(VALU_DEP_2) | instskip(SKIP_2) | instid1(VALU_DEP_3)
	v_cmp_ne_u32_e32 vcc_lo, v12, v14
	s_wait_alu 0xfffd
	v_cndmask_b32_e64 v12, 0, 1, vcc_lo
	v_cmp_ne_u32_e32 vcc_lo, v10, v15
	s_delay_alu instid0(VALU_DEP_2) | instskip(SKIP_3) | instid1(VALU_DEP_2)
	v_or_b32_e32 v12, v16, v12
	v_add_nc_u32_e32 v11, 0xfffffc10, v11
	s_wait_alu 0xfffd
	v_cndmask_b32_e64 v10, 0, 1, vcc_lo
	v_lshl_or_b32 v14, v11, 12, v2
	s_delay_alu instid0(VALU_DEP_2) | instskip(SKIP_2) | instid1(VALU_DEP_2)
	v_or_b32_e32 v10, v17, v10
	v_add_nc_u32_e32 v13, 0xfffffc10, v13
	v_cmp_gt_i32_e32 vcc_lo, 1, v11
	v_lshl_or_b32 v15, v13, 12, v4
	s_wait_alu 0xfffd
	v_cndmask_b32_e32 v12, v14, v12, vcc_lo
	v_cmp_gt_i32_e32 vcc_lo, 1, v13
	s_delay_alu instid0(VALU_DEP_2)
	v_and_b32_e32 v14, 7, v12
	s_wait_alu 0xfffd
	v_cndmask_b32_e32 v10, v15, v10, vcc_lo
	v_cmp_ne_u32_e32 vcc_lo, 0, v2
	v_lshrrev_b32_e32 v12, 2, v12
	v_cmp_eq_u32_e64 s0, 3, v14
	s_wait_alu 0xfffd
	v_cndmask_b32_e64 v2, 0, 1, vcc_lo
	v_cmp_ne_u32_e32 vcc_lo, 0, v4
	s_delay_alu instid0(VALU_DEP_2) | instskip(SKIP_3) | instid1(VALU_DEP_2)
	v_lshl_or_b32 v2, v2, 9, 0x7c00
	s_wait_alu 0xfffd
	v_cndmask_b32_e64 v4, 0, 1, vcc_lo
	v_cmp_lt_i32_e32 vcc_lo, 5, v14
	v_lshl_or_b32 v4, v4, 9, 0x7c00
	s_or_b32 vcc_lo, s0, vcc_lo
	s_wait_alu 0xfffe
	v_add_co_ci_u32_e32 v12, vcc_lo, 0, v12, vcc_lo
	v_and_b32_e32 v15, 7, v10
	v_lshrrev_b32_e32 v10, 2, v10
	s_delay_alu instid0(VALU_DEP_2) | instskip(SKIP_1) | instid1(VALU_DEP_1)
	v_cmp_lt_i32_e64 s1, 5, v15
	v_cmp_eq_u32_e64 s2, 3, v15
	s_or_b32 vcc_lo, s2, s1
	s_wait_alu 0xfffe
	v_add_co_ci_u32_e32 v10, vcc_lo, 0, v10, vcc_lo
	v_cmp_gt_i32_e32 vcc_lo, 31, v11
	s_wait_alu 0xfffd
	v_cndmask_b32_e32 v12, 0x7c00, v12, vcc_lo
	v_cmp_gt_i32_e32 vcc_lo, 31, v13
	s_wait_alu 0xfffd
	v_cndmask_b32_e32 v10, 0x7c00, v10, vcc_lo
	v_cmp_eq_u32_e32 vcc_lo, 0x40f, v11
	s_wait_alu 0xfffd
	v_cndmask_b32_e32 v2, v12, v2, vcc_lo
	v_cmp_eq_u32_e32 vcc_lo, 0x40f, v13
	s_delay_alu instid0(VALU_DEP_2)
	v_and_or_b32 v2, 0x8000, v3, v2
	s_wait_alu 0xfffd
	v_cndmask_b32_e32 v4, v10, v4, vcc_lo
	v_add_co_u32 v0, vcc_lo, v0, s4
	s_wait_alu 0xfffd
	v_add_co_ci_u32_e32 v1, vcc_lo, s5, v1, vcc_lo
	s_delay_alu instid0(VALU_DEP_3) | instskip(SKIP_1) | instid1(VALU_DEP_1)
	v_and_or_b32 v3, 0x8000, v5, v4
	v_and_b32_e32 v2, 0xffff, v2
	v_lshl_or_b32 v2, v3, 16, v2
	s_wait_dscnt 0x3
	v_lshrrev_b32_e32 v3, 16, v6
	global_store_b32 v[0:1], v2, off
	global_load_b32 v2, v[47:48], off offset:3100
	s_wait_loadcnt 0x0
	v_lshrrev_b32_e32 v4, 16, v2
	s_delay_alu instid0(VALU_DEP_1) | instskip(SKIP_1) | instid1(VALU_DEP_2)
	v_mul_f16_e32 v5, v3, v4
	v_mul_f16_e32 v4, v6, v4
	v_fmac_f16_e32 v5, v6, v2
	s_delay_alu instid0(VALU_DEP_2) | instskip(NEXT) | instid1(VALU_DEP_2)
	v_fma_f16 v2, v2, v3, -v4
	v_cvt_f32_f16_e32 v3, v5
	s_delay_alu instid0(VALU_DEP_2) | instskip(NEXT) | instid1(VALU_DEP_2)
	v_cvt_f32_f16_e32 v4, v2
	v_cvt_f64_f32_e32 v[2:3], v3
	s_delay_alu instid0(VALU_DEP_2) | instskip(NEXT) | instid1(VALU_DEP_2)
	v_cvt_f64_f32_e32 v[4:5], v4
	v_mul_f64_e32 v[2:3], s[10:11], v[2:3]
	s_delay_alu instid0(VALU_DEP_2) | instskip(NEXT) | instid1(VALU_DEP_2)
	v_mul_f64_e32 v[4:5], s[10:11], v[4:5]
	v_and_or_b32 v2, 0x1ff, v3, v2
	s_delay_alu instid0(VALU_DEP_2)
	v_and_or_b32 v4, 0x1ff, v5, v4
	v_lshrrev_b32_e32 v6, 8, v3
	v_bfe_u32 v10, v3, 20, 11
	v_lshrrev_b32_e32 v11, 8, v5
	v_cmp_ne_u32_e32 vcc_lo, 0, v2
	v_bfe_u32 v12, v5, 20, 11
	v_lshrrev_b32_e32 v3, 16, v3
	v_sub_nc_u32_e32 v13, 0x3f1, v10
	v_add_nc_u32_e32 v10, 0xfffffc10, v10
	s_wait_alu 0xfffd
	v_cndmask_b32_e64 v2, 0, 1, vcc_lo
	v_cmp_ne_u32_e32 vcc_lo, 0, v4
	v_lshrrev_b32_e32 v5, 16, v5
	s_delay_alu instid0(VALU_DEP_3) | instskip(SKIP_4) | instid1(VALU_DEP_3)
	v_and_or_b32 v2, 0xffe, v6, v2
	s_wait_alu 0xfffd
	v_cndmask_b32_e64 v4, 0, 1, vcc_lo
	v_sub_nc_u32_e32 v6, 0x3f1, v12
	v_add_nc_u32_e32 v12, 0xfffffc10, v12
	v_and_or_b32 v4, 0xffe, v11, v4
	v_med3_i32 v11, v13, 0, 13
	v_or_b32_e32 v13, 0x1000, v2
	v_med3_i32 v6, v6, 0, 13
	s_delay_alu instid0(VALU_DEP_4) | instskip(NEXT) | instid1(VALU_DEP_3)
	v_or_b32_e32 v14, 0x1000, v4
	v_lshrrev_b32_e32 v15, v11, v13
	s_delay_alu instid0(VALU_DEP_2) | instskip(NEXT) | instid1(VALU_DEP_2)
	v_lshrrev_b32_e32 v16, v6, v14
	v_lshlrev_b32_e32 v11, v11, v15
	s_delay_alu instid0(VALU_DEP_2) | instskip(NEXT) | instid1(VALU_DEP_2)
	v_lshlrev_b32_e32 v6, v6, v16
	v_cmp_ne_u32_e32 vcc_lo, v11, v13
	v_lshl_or_b32 v13, v10, 12, v2
	s_wait_alu 0xfffd
	v_cndmask_b32_e64 v11, 0, 1, vcc_lo
	v_cmp_ne_u32_e32 vcc_lo, v6, v14
	v_lshl_or_b32 v14, v12, 12, v4
	s_delay_alu instid0(VALU_DEP_3) | instskip(SKIP_3) | instid1(VALU_DEP_2)
	v_or_b32_e32 v11, v15, v11
	s_wait_alu 0xfffd
	v_cndmask_b32_e64 v6, 0, 1, vcc_lo
	v_cmp_gt_i32_e32 vcc_lo, 1, v10
	v_or_b32_e32 v6, v16, v6
	s_wait_alu 0xfffd
	v_cndmask_b32_e32 v11, v13, v11, vcc_lo
	v_cmp_gt_i32_e32 vcc_lo, 1, v12
	s_wait_alu 0xfffd
	s_delay_alu instid0(VALU_DEP_2) | instskip(SKIP_2) | instid1(VALU_DEP_3)
	v_dual_cndmask_b32 v6, v14, v6 :: v_dual_and_b32 v13, 7, v11
	v_cmp_ne_u32_e32 vcc_lo, 0, v2
	v_lshrrev_b32_e32 v11, 2, v11
	v_cmp_eq_u32_e64 s0, 3, v13
	s_delay_alu instid0(VALU_DEP_4)
	v_and_b32_e32 v14, 7, v6
	s_wait_alu 0xfffd
	v_cndmask_b32_e64 v2, 0, 1, vcc_lo
	v_cmp_ne_u32_e32 vcc_lo, 0, v4
	v_lshrrev_b32_e32 v6, 2, v6
	v_cmp_lt_i32_e64 s1, 5, v14
	v_cmp_eq_u32_e64 s2, 3, v14
	s_wait_alu 0xfffd
	v_cndmask_b32_e64 v4, 0, 1, vcc_lo
	v_cmp_lt_i32_e32 vcc_lo, 5, v13
	v_lshl_or_b32 v2, v2, 9, 0x7c00
	s_delay_alu instid0(VALU_DEP_3)
	v_lshl_or_b32 v4, v4, 9, 0x7c00
	s_or_b32 vcc_lo, s0, vcc_lo
	s_wait_alu 0xfffe
	v_add_co_ci_u32_e32 v11, vcc_lo, 0, v11, vcc_lo
	s_or_b32 vcc_lo, s2, s1
	s_wait_alu 0xfffe
	v_add_co_ci_u32_e32 v6, vcc_lo, 0, v6, vcc_lo
	v_cmp_gt_i32_e32 vcc_lo, 31, v10
	s_wait_alu 0xfffd
	v_cndmask_b32_e32 v11, 0x7c00, v11, vcc_lo
	v_cmp_gt_i32_e32 vcc_lo, 31, v12
	s_wait_alu 0xfffd
	v_cndmask_b32_e32 v6, 0x7c00, v6, vcc_lo
	v_cmp_eq_u32_e32 vcc_lo, 0x40f, v10
	s_wait_alu 0xfffd
	v_cndmask_b32_e32 v2, v11, v2, vcc_lo
	v_cmp_eq_u32_e32 vcc_lo, 0x40f, v12
	s_delay_alu instid0(VALU_DEP_2)
	v_and_or_b32 v2, 0x8000, v3, v2
	s_wait_alu 0xfffd
	v_cndmask_b32_e32 v4, v6, v4, vcc_lo
	v_add_co_u32 v0, vcc_lo, v0, s6
	s_wait_alu 0xfffd
	v_add_co_ci_u32_e32 v1, vcc_lo, s7, v1, vcc_lo
	s_delay_alu instid0(VALU_DEP_3) | instskip(SKIP_1) | instid1(VALU_DEP_1)
	v_and_or_b32 v3, 0x8000, v5, v4
	v_and_b32_e32 v2, 0xffff, v2
	v_lshl_or_b32 v2, v3, 16, v2
	s_wait_dscnt 0x2
	v_lshrrev_b32_e32 v3, 16, v7
	global_store_b32 v[0:1], v2, off
	global_load_b32 v2, v[47:48], off offset:4700
	s_wait_loadcnt 0x0
	v_lshrrev_b32_e32 v4, 16, v2
	s_delay_alu instid0(VALU_DEP_1) | instskip(SKIP_1) | instid1(VALU_DEP_2)
	v_mul_f16_e32 v5, v3, v4
	v_mul_f16_e32 v4, v7, v4
	v_fmac_f16_e32 v5, v7, v2
	s_delay_alu instid0(VALU_DEP_2) | instskip(NEXT) | instid1(VALU_DEP_2)
	v_fma_f16 v2, v2, v3, -v4
	v_cvt_f32_f16_e32 v3, v5
	s_delay_alu instid0(VALU_DEP_2) | instskip(NEXT) | instid1(VALU_DEP_2)
	v_cvt_f32_f16_e32 v4, v2
	v_cvt_f64_f32_e32 v[2:3], v3
	s_delay_alu instid0(VALU_DEP_2) | instskip(NEXT) | instid1(VALU_DEP_2)
	v_cvt_f64_f32_e32 v[4:5], v4
	v_mul_f64_e32 v[2:3], s[10:11], v[2:3]
	s_delay_alu instid0(VALU_DEP_2) | instskip(NEXT) | instid1(VALU_DEP_2)
	v_mul_f64_e32 v[4:5], s[10:11], v[4:5]
	v_and_or_b32 v2, 0x1ff, v3, v2
	s_delay_alu instid0(VALU_DEP_2)
	v_and_or_b32 v4, 0x1ff, v5, v4
	v_lshrrev_b32_e32 v6, 8, v3
	v_bfe_u32 v7, v3, 20, 11
	v_lshrrev_b32_e32 v10, 8, v5
	v_cmp_ne_u32_e32 vcc_lo, 0, v2
	v_bfe_u32 v11, v5, 20, 11
	v_lshrrev_b32_e32 v3, 16, v3
	v_sub_nc_u32_e32 v12, 0x3f1, v7
	v_add_nc_u32_e32 v7, 0xfffffc10, v7
	s_wait_alu 0xfffd
	v_cndmask_b32_e64 v2, 0, 1, vcc_lo
	v_cmp_ne_u32_e32 vcc_lo, 0, v4
	v_lshrrev_b32_e32 v5, 16, v5
	s_delay_alu instid0(VALU_DEP_3) | instskip(SKIP_4) | instid1(VALU_DEP_3)
	v_and_or_b32 v2, 0xffe, v6, v2
	s_wait_alu 0xfffd
	v_cndmask_b32_e64 v4, 0, 1, vcc_lo
	v_sub_nc_u32_e32 v6, 0x3f1, v11
	v_add_nc_u32_e32 v11, 0xfffffc10, v11
	v_and_or_b32 v4, 0xffe, v10, v4
	v_med3_i32 v10, v12, 0, 13
	v_or_b32_e32 v12, 0x1000, v2
	v_med3_i32 v6, v6, 0, 13
	s_delay_alu instid0(VALU_DEP_4) | instskip(NEXT) | instid1(VALU_DEP_3)
	v_or_b32_e32 v13, 0x1000, v4
	v_lshrrev_b32_e32 v14, v10, v12
	s_delay_alu instid0(VALU_DEP_2) | instskip(NEXT) | instid1(VALU_DEP_2)
	v_lshrrev_b32_e32 v15, v6, v13
	v_lshlrev_b32_e32 v10, v10, v14
	s_delay_alu instid0(VALU_DEP_2) | instskip(NEXT) | instid1(VALU_DEP_2)
	v_lshlrev_b32_e32 v6, v6, v15
	v_cmp_ne_u32_e32 vcc_lo, v10, v12
	v_lshl_or_b32 v12, v7, 12, v2
	s_wait_alu 0xfffd
	v_cndmask_b32_e64 v10, 0, 1, vcc_lo
	v_cmp_ne_u32_e32 vcc_lo, v6, v13
	v_lshl_or_b32 v13, v11, 12, v4
	s_delay_alu instid0(VALU_DEP_3) | instskip(SKIP_3) | instid1(VALU_DEP_2)
	v_or_b32_e32 v10, v14, v10
	s_wait_alu 0xfffd
	v_cndmask_b32_e64 v6, 0, 1, vcc_lo
	v_cmp_gt_i32_e32 vcc_lo, 1, v7
	v_or_b32_e32 v6, v15, v6
	s_wait_alu 0xfffd
	v_cndmask_b32_e32 v10, v12, v10, vcc_lo
	v_cmp_gt_i32_e32 vcc_lo, 1, v11
	s_delay_alu instid0(VALU_DEP_2)
	v_and_b32_e32 v12, 7, v10
	s_wait_alu 0xfffd
	v_cndmask_b32_e32 v6, v13, v6, vcc_lo
	v_cmp_ne_u32_e32 vcc_lo, 0, v2
	v_lshrrev_b32_e32 v10, 2, v10
	v_cmp_eq_u32_e64 s0, 3, v12
	s_delay_alu instid0(VALU_DEP_4)
	v_and_b32_e32 v13, 7, v6
	s_wait_alu 0xfffd
	v_cndmask_b32_e64 v2, 0, 1, vcc_lo
	v_cmp_ne_u32_e32 vcc_lo, 0, v4
	v_lshrrev_b32_e32 v6, 2, v6
	v_cmp_lt_i32_e64 s1, 5, v13
	v_cmp_eq_u32_e64 s2, 3, v13
	s_wait_alu 0xfffd
	v_cndmask_b32_e64 v4, 0, 1, vcc_lo
	v_cmp_lt_i32_e32 vcc_lo, 5, v12
	v_lshl_or_b32 v2, v2, 9, 0x7c00
	s_delay_alu instid0(VALU_DEP_3)
	v_lshl_or_b32 v4, v4, 9, 0x7c00
	s_or_b32 vcc_lo, s0, vcc_lo
	s_wait_alu 0xfffe
	v_add_co_ci_u32_e32 v10, vcc_lo, 0, v10, vcc_lo
	s_or_b32 vcc_lo, s2, s1
	s_wait_alu 0xfffe
	v_add_co_ci_u32_e32 v6, vcc_lo, 0, v6, vcc_lo
	v_cmp_gt_i32_e32 vcc_lo, 31, v7
	s_wait_alu 0xfffd
	v_cndmask_b32_e32 v10, 0x7c00, v10, vcc_lo
	v_cmp_gt_i32_e32 vcc_lo, 31, v11
	s_wait_alu 0xfffd
	v_cndmask_b32_e32 v6, 0x7c00, v6, vcc_lo
	v_cmp_eq_u32_e32 vcc_lo, 0x40f, v7
	s_wait_alu 0xfffd
	v_cndmask_b32_e32 v2, v10, v2, vcc_lo
	v_cmp_eq_u32_e32 vcc_lo, 0x40f, v11
	s_delay_alu instid0(VALU_DEP_2)
	v_and_or_b32 v2, 0x8000, v3, v2
	s_wait_alu 0xfffd
	v_cndmask_b32_e32 v4, v6, v4, vcc_lo
	v_add_co_u32 v0, vcc_lo, v0, s6
	s_wait_alu 0xfffd
	v_add_co_ci_u32_e32 v1, vcc_lo, s7, v1, vcc_lo
	s_delay_alu instid0(VALU_DEP_3) | instskip(SKIP_1) | instid1(VALU_DEP_1)
	v_and_or_b32 v3, 0x8000, v5, v4
	v_and_b32_e32 v2, 0xffff, v2
	v_lshl_or_b32 v2, v3, 16, v2
	s_wait_dscnt 0x1
	v_lshrrev_b32_e32 v3, 16, v8
	global_store_b32 v[0:1], v2, off
	global_load_b32 v2, v[47:48], off offset:6300
	s_wait_loadcnt 0x0
	v_lshrrev_b32_e32 v4, 16, v2
	s_delay_alu instid0(VALU_DEP_1) | instskip(SKIP_1) | instid1(VALU_DEP_2)
	v_mul_f16_e32 v5, v3, v4
	v_mul_f16_e32 v4, v8, v4
	v_fmac_f16_e32 v5, v8, v2
	s_delay_alu instid0(VALU_DEP_2) | instskip(NEXT) | instid1(VALU_DEP_2)
	v_fma_f16 v2, v2, v3, -v4
	v_cvt_f32_f16_e32 v3, v5
	s_delay_alu instid0(VALU_DEP_2) | instskip(NEXT) | instid1(VALU_DEP_2)
	v_cvt_f32_f16_e32 v4, v2
	v_cvt_f64_f32_e32 v[2:3], v3
	s_delay_alu instid0(VALU_DEP_2) | instskip(NEXT) | instid1(VALU_DEP_2)
	v_cvt_f64_f32_e32 v[4:5], v4
	v_mul_f64_e32 v[2:3], s[10:11], v[2:3]
	s_delay_alu instid0(VALU_DEP_2) | instskip(NEXT) | instid1(VALU_DEP_2)
	v_mul_f64_e32 v[4:5], s[10:11], v[4:5]
	v_and_or_b32 v2, 0x1ff, v3, v2
	s_delay_alu instid0(VALU_DEP_2)
	v_and_or_b32 v4, 0x1ff, v5, v4
	v_lshrrev_b32_e32 v6, 8, v3
	v_bfe_u32 v7, v3, 20, 11
	v_lshrrev_b32_e32 v8, 8, v5
	v_cmp_ne_u32_e32 vcc_lo, 0, v2
	v_bfe_u32 v10, v5, 20, 11
	v_lshrrev_b32_e32 v3, 16, v3
	v_sub_nc_u32_e32 v11, 0x3f1, v7
	v_add_nc_u32_e32 v7, 0xfffffc10, v7
	s_wait_alu 0xfffd
	v_cndmask_b32_e64 v2, 0, 1, vcc_lo
	v_cmp_ne_u32_e32 vcc_lo, 0, v4
	v_lshrrev_b32_e32 v5, 16, v5
	s_delay_alu instid0(VALU_DEP_3) | instskip(SKIP_4) | instid1(VALU_DEP_3)
	v_and_or_b32 v2, 0xffe, v6, v2
	s_wait_alu 0xfffd
	v_cndmask_b32_e64 v4, 0, 1, vcc_lo
	v_sub_nc_u32_e32 v6, 0x3f1, v10
	v_add_nc_u32_e32 v10, 0xfffffc10, v10
	v_and_or_b32 v4, 0xffe, v8, v4
	v_med3_i32 v8, v11, 0, 13
	v_or_b32_e32 v11, 0x1000, v2
	v_med3_i32 v6, v6, 0, 13
	s_delay_alu instid0(VALU_DEP_4) | instskip(NEXT) | instid1(VALU_DEP_3)
	v_or_b32_e32 v12, 0x1000, v4
	v_lshrrev_b32_e32 v13, v8, v11
	s_delay_alu instid0(VALU_DEP_2) | instskip(NEXT) | instid1(VALU_DEP_2)
	v_lshrrev_b32_e32 v14, v6, v12
	v_lshlrev_b32_e32 v8, v8, v13
	s_delay_alu instid0(VALU_DEP_2) | instskip(NEXT) | instid1(VALU_DEP_2)
	v_lshlrev_b32_e32 v6, v6, v14
	v_cmp_ne_u32_e32 vcc_lo, v8, v11
	v_lshl_or_b32 v11, v7, 12, v2
	s_wait_alu 0xfffd
	v_cndmask_b32_e64 v8, 0, 1, vcc_lo
	v_cmp_ne_u32_e32 vcc_lo, v6, v12
	v_lshl_or_b32 v12, v10, 12, v4
	s_delay_alu instid0(VALU_DEP_3) | instskip(SKIP_3) | instid1(VALU_DEP_2)
	v_or_b32_e32 v8, v13, v8
	s_wait_alu 0xfffd
	v_cndmask_b32_e64 v6, 0, 1, vcc_lo
	v_cmp_gt_i32_e32 vcc_lo, 1, v7
	v_or_b32_e32 v6, v14, v6
	s_wait_alu 0xfffd
	v_cndmask_b32_e32 v8, v11, v8, vcc_lo
	v_cmp_gt_i32_e32 vcc_lo, 1, v10
	s_wait_alu 0xfffd
	s_delay_alu instid0(VALU_DEP_2) | instskip(SKIP_2) | instid1(VALU_DEP_3)
	v_dual_cndmask_b32 v6, v12, v6 :: v_dual_and_b32 v11, 7, v8
	v_cmp_ne_u32_e32 vcc_lo, 0, v2
	v_lshrrev_b32_e32 v8, 2, v8
	v_cmp_eq_u32_e64 s0, 3, v11
	s_delay_alu instid0(VALU_DEP_4)
	v_and_b32_e32 v12, 7, v6
	s_wait_alu 0xfffd
	v_cndmask_b32_e64 v2, 0, 1, vcc_lo
	v_cmp_ne_u32_e32 vcc_lo, 0, v4
	v_lshrrev_b32_e32 v6, 2, v6
	v_cmp_lt_i32_e64 s1, 5, v12
	v_cmp_eq_u32_e64 s2, 3, v12
	s_wait_alu 0xfffd
	v_cndmask_b32_e64 v4, 0, 1, vcc_lo
	v_cmp_lt_i32_e32 vcc_lo, 5, v11
	v_lshl_or_b32 v2, v2, 9, 0x7c00
	s_delay_alu instid0(VALU_DEP_3)
	v_lshl_or_b32 v4, v4, 9, 0x7c00
	s_or_b32 vcc_lo, s0, vcc_lo
	s_wait_alu 0xfffe
	v_add_co_ci_u32_e32 v8, vcc_lo, 0, v8, vcc_lo
	s_or_b32 vcc_lo, s2, s1
	s_wait_alu 0xfffe
	v_add_co_ci_u32_e32 v6, vcc_lo, 0, v6, vcc_lo
	v_cmp_gt_i32_e32 vcc_lo, 31, v7
	s_wait_alu 0xfffd
	v_cndmask_b32_e32 v8, 0x7c00, v8, vcc_lo
	v_cmp_gt_i32_e32 vcc_lo, 31, v10
	s_wait_alu 0xfffd
	v_cndmask_b32_e32 v6, 0x7c00, v6, vcc_lo
	v_cmp_eq_u32_e32 vcc_lo, 0x40f, v7
	s_wait_alu 0xfffd
	v_cndmask_b32_e32 v2, v8, v2, vcc_lo
	v_cmp_eq_u32_e32 vcc_lo, 0x40f, v10
	s_delay_alu instid0(VALU_DEP_2)
	v_and_or_b32 v2, 0x8000, v3, v2
	s_wait_alu 0xfffd
	v_cndmask_b32_e32 v4, v6, v4, vcc_lo
	v_add_co_u32 v0, vcc_lo, v0, s6
	s_wait_alu 0xfffd
	v_add_co_ci_u32_e32 v1, vcc_lo, s7, v1, vcc_lo
	s_delay_alu instid0(VALU_DEP_3) | instskip(SKIP_1) | instid1(VALU_DEP_1)
	v_and_or_b32 v3, 0x8000, v5, v4
	v_and_b32_e32 v2, 0xffff, v2
	v_lshl_or_b32 v2, v3, 16, v2
	s_wait_dscnt 0x0
	v_lshrrev_b32_e32 v3, 16, v9
	global_store_b32 v[0:1], v2, off
	global_load_b32 v2, v[47:48], off offset:7900
	s_wait_loadcnt 0x0
	v_lshrrev_b32_e32 v4, 16, v2
	s_delay_alu instid0(VALU_DEP_1) | instskip(SKIP_1) | instid1(VALU_DEP_2)
	v_mul_f16_e32 v5, v3, v4
	v_mul_f16_e32 v4, v9, v4
	v_fmac_f16_e32 v5, v9, v2
	s_delay_alu instid0(VALU_DEP_2) | instskip(NEXT) | instid1(VALU_DEP_2)
	v_fma_f16 v2, v2, v3, -v4
	v_cvt_f32_f16_e32 v3, v5
	s_delay_alu instid0(VALU_DEP_2) | instskip(NEXT) | instid1(VALU_DEP_2)
	v_cvt_f32_f16_e32 v4, v2
	v_cvt_f64_f32_e32 v[2:3], v3
	s_delay_alu instid0(VALU_DEP_2) | instskip(NEXT) | instid1(VALU_DEP_2)
	v_cvt_f64_f32_e32 v[4:5], v4
	v_mul_f64_e32 v[2:3], s[10:11], v[2:3]
	s_delay_alu instid0(VALU_DEP_2) | instskip(NEXT) | instid1(VALU_DEP_2)
	v_mul_f64_e32 v[4:5], s[10:11], v[4:5]
	v_and_or_b32 v2, 0x1ff, v3, v2
	s_delay_alu instid0(VALU_DEP_2)
	v_and_or_b32 v4, 0x1ff, v5, v4
	v_lshrrev_b32_e32 v6, 8, v3
	v_bfe_u32 v7, v3, 20, 11
	v_lshrrev_b32_e32 v8, 8, v5
	v_cmp_ne_u32_e32 vcc_lo, 0, v2
	v_bfe_u32 v9, v5, 20, 11
	v_lshrrev_b32_e32 v3, 16, v3
	v_sub_nc_u32_e32 v10, 0x3f1, v7
	v_add_nc_u32_e32 v7, 0xfffffc10, v7
	s_wait_alu 0xfffd
	v_cndmask_b32_e64 v2, 0, 1, vcc_lo
	v_cmp_ne_u32_e32 vcc_lo, 0, v4
	v_lshrrev_b32_e32 v5, 16, v5
	s_delay_alu instid0(VALU_DEP_3) | instskip(SKIP_4) | instid1(VALU_DEP_3)
	v_and_or_b32 v2, 0xffe, v6, v2
	s_wait_alu 0xfffd
	v_cndmask_b32_e64 v4, 0, 1, vcc_lo
	v_sub_nc_u32_e32 v6, 0x3f1, v9
	v_add_nc_u32_e32 v9, 0xfffffc10, v9
	v_and_or_b32 v4, 0xffe, v8, v4
	v_med3_i32 v8, v10, 0, 13
	v_or_b32_e32 v10, 0x1000, v2
	v_med3_i32 v6, v6, 0, 13
	s_delay_alu instid0(VALU_DEP_4) | instskip(NEXT) | instid1(VALU_DEP_3)
	v_or_b32_e32 v11, 0x1000, v4
	v_lshrrev_b32_e32 v12, v8, v10
	s_delay_alu instid0(VALU_DEP_2) | instskip(NEXT) | instid1(VALU_DEP_2)
	v_lshrrev_b32_e32 v13, v6, v11
	v_lshlrev_b32_e32 v8, v8, v12
	s_delay_alu instid0(VALU_DEP_2) | instskip(NEXT) | instid1(VALU_DEP_2)
	v_lshlrev_b32_e32 v6, v6, v13
	v_cmp_ne_u32_e32 vcc_lo, v8, v10
	v_lshl_or_b32 v10, v7, 12, v2
	s_wait_alu 0xfffd
	v_cndmask_b32_e64 v8, 0, 1, vcc_lo
	v_cmp_ne_u32_e32 vcc_lo, v6, v11
	v_lshl_or_b32 v11, v9, 12, v4
	s_delay_alu instid0(VALU_DEP_3) | instskip(SKIP_3) | instid1(VALU_DEP_2)
	v_or_b32_e32 v8, v12, v8
	s_wait_alu 0xfffd
	v_cndmask_b32_e64 v6, 0, 1, vcc_lo
	v_cmp_gt_i32_e32 vcc_lo, 1, v7
	v_or_b32_e32 v6, v13, v6
	s_wait_alu 0xfffd
	v_cndmask_b32_e32 v8, v10, v8, vcc_lo
	v_cmp_gt_i32_e32 vcc_lo, 1, v9
	s_delay_alu instid0(VALU_DEP_2)
	v_and_b32_e32 v10, 7, v8
	s_wait_alu 0xfffd
	v_cndmask_b32_e32 v6, v11, v6, vcc_lo
	v_cmp_ne_u32_e32 vcc_lo, 0, v2
	v_lshrrev_b32_e32 v8, 2, v8
	v_cmp_eq_u32_e64 s0, 3, v10
	s_delay_alu instid0(VALU_DEP_4)
	v_and_b32_e32 v11, 7, v6
	s_wait_alu 0xfffd
	v_cndmask_b32_e64 v2, 0, 1, vcc_lo
	v_cmp_ne_u32_e32 vcc_lo, 0, v4
	v_lshrrev_b32_e32 v6, 2, v6
	v_cmp_lt_i32_e64 s1, 5, v11
	v_cmp_eq_u32_e64 s2, 3, v11
	s_wait_alu 0xfffd
	v_cndmask_b32_e64 v4, 0, 1, vcc_lo
	v_cmp_lt_i32_e32 vcc_lo, 5, v10
	v_lshl_or_b32 v2, v2, 9, 0x7c00
	s_delay_alu instid0(VALU_DEP_3)
	v_lshl_or_b32 v4, v4, 9, 0x7c00
	s_or_b32 vcc_lo, s0, vcc_lo
	s_wait_alu 0xfffe
	v_add_co_ci_u32_e32 v8, vcc_lo, 0, v8, vcc_lo
	s_or_b32 vcc_lo, s2, s1
	s_wait_alu 0xfffe
	v_add_co_ci_u32_e32 v6, vcc_lo, 0, v6, vcc_lo
	v_cmp_gt_i32_e32 vcc_lo, 31, v7
	s_wait_alu 0xfffd
	v_cndmask_b32_e32 v8, 0x7c00, v8, vcc_lo
	v_cmp_gt_i32_e32 vcc_lo, 31, v9
	s_wait_alu 0xfffd
	v_cndmask_b32_e32 v6, 0x7c00, v6, vcc_lo
	v_cmp_eq_u32_e32 vcc_lo, 0x40f, v7
	s_wait_alu 0xfffd
	v_cndmask_b32_e32 v2, v8, v2, vcc_lo
	v_cmp_eq_u32_e32 vcc_lo, 0x40f, v9
	s_delay_alu instid0(VALU_DEP_2)
	v_and_or_b32 v2, 0x8000, v3, v2
	s_wait_alu 0xfffd
	v_cndmask_b32_e32 v4, v6, v4, vcc_lo
	v_add_co_u32 v0, vcc_lo, v0, s6
	s_wait_alu 0xfffd
	v_add_co_ci_u32_e32 v1, vcc_lo, s7, v1, vcc_lo
	s_delay_alu instid0(VALU_DEP_3) | instskip(SKIP_1) | instid1(VALU_DEP_1)
	v_and_or_b32 v3, 0x8000, v5, v4
	v_and_b32_e32 v2, 0xffff, v2
	v_lshl_or_b32 v2, v3, 16, v2
	global_store_b32 v[0:1], v2, off
.LBB0_31:
	s_nop 0
	s_sendmsg sendmsg(MSG_DEALLOC_VGPRS)
	s_endpgm
	.section	.rodata,"a",@progbits
	.p2align	6, 0x0
	.amdhsa_kernel bluestein_single_back_len2000_dim1_half_op_CI_CI
		.amdhsa_group_segment_fixed_size 8000
		.amdhsa_private_segment_fixed_size 0
		.amdhsa_kernarg_size 104
		.amdhsa_user_sgpr_count 2
		.amdhsa_user_sgpr_dispatch_ptr 0
		.amdhsa_user_sgpr_queue_ptr 0
		.amdhsa_user_sgpr_kernarg_segment_ptr 1
		.amdhsa_user_sgpr_dispatch_id 0
		.amdhsa_user_sgpr_private_segment_size 0
		.amdhsa_wavefront_size32 1
		.amdhsa_uses_dynamic_stack 0
		.amdhsa_enable_private_segment 0
		.amdhsa_system_sgpr_workgroup_id_x 1
		.amdhsa_system_sgpr_workgroup_id_y 0
		.amdhsa_system_sgpr_workgroup_id_z 0
		.amdhsa_system_sgpr_workgroup_info 0
		.amdhsa_system_vgpr_workitem_id 0
		.amdhsa_next_free_vgpr 225
		.amdhsa_next_free_sgpr 18
		.amdhsa_reserve_vcc 1
		.amdhsa_float_round_mode_32 0
		.amdhsa_float_round_mode_16_64 0
		.amdhsa_float_denorm_mode_32 3
		.amdhsa_float_denorm_mode_16_64 3
		.amdhsa_fp16_overflow 0
		.amdhsa_workgroup_processor_mode 1
		.amdhsa_memory_ordered 1
		.amdhsa_forward_progress 0
		.amdhsa_round_robin_scheduling 0
		.amdhsa_exception_fp_ieee_invalid_op 0
		.amdhsa_exception_fp_denorm_src 0
		.amdhsa_exception_fp_ieee_div_zero 0
		.amdhsa_exception_fp_ieee_overflow 0
		.amdhsa_exception_fp_ieee_underflow 0
		.amdhsa_exception_fp_ieee_inexact 0
		.amdhsa_exception_int_div_zero 0
	.end_amdhsa_kernel
	.text
.Lfunc_end0:
	.size	bluestein_single_back_len2000_dim1_half_op_CI_CI, .Lfunc_end0-bluestein_single_back_len2000_dim1_half_op_CI_CI
                                        ; -- End function
	.section	.AMDGPU.csdata,"",@progbits
; Kernel info:
; codeLenInByte = 37960
; NumSgprs: 20
; NumVgprs: 225
; ScratchSize: 0
; MemoryBound: 0
; FloatMode: 240
; IeeeMode: 1
; LDSByteSize: 8000 bytes/workgroup (compile time only)
; SGPRBlocks: 2
; VGPRBlocks: 28
; NumSGPRsForWavesPerEU: 20
; NumVGPRsForWavesPerEU: 225
; Occupancy: 6
; WaveLimiterHint : 1
; COMPUTE_PGM_RSRC2:SCRATCH_EN: 0
; COMPUTE_PGM_RSRC2:USER_SGPR: 2
; COMPUTE_PGM_RSRC2:TRAP_HANDLER: 0
; COMPUTE_PGM_RSRC2:TGID_X_EN: 1
; COMPUTE_PGM_RSRC2:TGID_Y_EN: 0
; COMPUTE_PGM_RSRC2:TGID_Z_EN: 0
; COMPUTE_PGM_RSRC2:TIDIG_COMP_CNT: 0
	.text
	.p2alignl 7, 3214868480
	.fill 96, 4, 3214868480
	.type	__hip_cuid_2f2ef684d8803d37,@object ; @__hip_cuid_2f2ef684d8803d37
	.section	.bss,"aw",@nobits
	.globl	__hip_cuid_2f2ef684d8803d37
__hip_cuid_2f2ef684d8803d37:
	.byte	0                               ; 0x0
	.size	__hip_cuid_2f2ef684d8803d37, 1

	.ident	"AMD clang version 19.0.0git (https://github.com/RadeonOpenCompute/llvm-project roc-6.4.0 25133 c7fe45cf4b819c5991fe208aaa96edf142730f1d)"
	.section	".note.GNU-stack","",@progbits
	.addrsig
	.addrsig_sym __hip_cuid_2f2ef684d8803d37
	.amdgpu_metadata
---
amdhsa.kernels:
  - .args:
      - .actual_access:  read_only
        .address_space:  global
        .offset:         0
        .size:           8
        .value_kind:     global_buffer
      - .actual_access:  read_only
        .address_space:  global
        .offset:         8
        .size:           8
        .value_kind:     global_buffer
      - .actual_access:  read_only
        .address_space:  global
        .offset:         16
        .size:           8
        .value_kind:     global_buffer
      - .actual_access:  read_only
        .address_space:  global
        .offset:         24
        .size:           8
        .value_kind:     global_buffer
      - .actual_access:  read_only
        .address_space:  global
        .offset:         32
        .size:           8
        .value_kind:     global_buffer
      - .offset:         40
        .size:           8
        .value_kind:     by_value
      - .address_space:  global
        .offset:         48
        .size:           8
        .value_kind:     global_buffer
      - .address_space:  global
        .offset:         56
        .size:           8
        .value_kind:     global_buffer
      - .address_space:  global
        .offset:         64
        .size:           8
        .value_kind:     global_buffer
      - .address_space:  global
        .offset:         72
        .size:           8
        .value_kind:     global_buffer
      - .offset:         80
        .size:           4
        .value_kind:     by_value
      - .address_space:  global
        .offset:         88
        .size:           8
        .value_kind:     global_buffer
      - .address_space:  global
        .offset:         96
        .size:           8
        .value_kind:     global_buffer
    .group_segment_fixed_size: 8000
    .kernarg_segment_align: 8
    .kernarg_segment_size: 104
    .language:       OpenCL C
    .language_version:
      - 2
      - 0
    .max_flat_workgroup_size: 125
    .name:           bluestein_single_back_len2000_dim1_half_op_CI_CI
    .private_segment_fixed_size: 0
    .sgpr_count:     20
    .sgpr_spill_count: 0
    .symbol:         bluestein_single_back_len2000_dim1_half_op_CI_CI.kd
    .uniform_work_group_size: 1
    .uses_dynamic_stack: false
    .vgpr_count:     225
    .vgpr_spill_count: 0
    .wavefront_size: 32
    .workgroup_processor_mode: 1
amdhsa.target:   amdgcn-amd-amdhsa--gfx1201
amdhsa.version:
  - 1
  - 2
...

	.end_amdgpu_metadata
